;; amdgpu-corpus repo=ROCm/rocFFT kind=compiled arch=gfx1030 opt=O3
	.text
	.amdgcn_target "amdgcn-amd-amdhsa--gfx1030"
	.amdhsa_code_object_version 6
	.protected	fft_rtc_back_len546_factors_13_3_7_2_wgs_117_tpt_39_halfLds_dp_ip_CI_unitstride_sbrr_R2C_dirReg ; -- Begin function fft_rtc_back_len546_factors_13_3_7_2_wgs_117_tpt_39_halfLds_dp_ip_CI_unitstride_sbrr_R2C_dirReg
	.globl	fft_rtc_back_len546_factors_13_3_7_2_wgs_117_tpt_39_halfLds_dp_ip_CI_unitstride_sbrr_R2C_dirReg
	.p2align	8
	.type	fft_rtc_back_len546_factors_13_3_7_2_wgs_117_tpt_39_halfLds_dp_ip_CI_unitstride_sbrr_R2C_dirReg,@function
fft_rtc_back_len546_factors_13_3_7_2_wgs_117_tpt_39_halfLds_dp_ip_CI_unitstride_sbrr_R2C_dirReg: ; @fft_rtc_back_len546_factors_13_3_7_2_wgs_117_tpt_39_halfLds_dp_ip_CI_unitstride_sbrr_R2C_dirReg
; %bb.0:
	s_load_dwordx4 s[8:11], s[4:5], 0x0
	v_mul_u32_u24_e32 v1, 0x691, v0
	s_clause 0x1
	s_load_dwordx2 s[2:3], s[4:5], 0x50
	s_load_dwordx2 s[12:13], s[4:5], 0x18
	v_mov_b32_e32 v5, 0
	v_mov_b32_e32 v3, 0
	;; [unrolled: 1-line block ×3, first 2 shown]
	v_lshrrev_b32_e32 v1, 16, v1
	v_mad_u64_u32 v[1:2], null, s6, 3, v[1:2]
	v_mov_b32_e32 v2, v5
	v_mov_b32_e32 v10, v2
	;; [unrolled: 1-line block ×3, first 2 shown]
	s_waitcnt lgkmcnt(0)
	v_cmp_lt_u64_e64 s0, s[10:11], 2
	s_and_b32 vcc_lo, exec_lo, s0
	s_cbranch_vccnz .LBB0_8
; %bb.1:
	s_load_dwordx2 s[0:1], s[4:5], 0x10
	v_mov_b32_e32 v3, 0
	v_mov_b32_e32 v8, v2
	s_add_u32 s6, s12, 8
	v_mov_b32_e32 v4, 0
	v_mov_b32_e32 v7, v1
	s_addc_u32 s7, s13, 0
	s_mov_b64 s[16:17], 1
	s_waitcnt lgkmcnt(0)
	s_add_u32 s14, s0, 8
	s_addc_u32 s15, s1, 0
.LBB0_2:                                ; =>This Inner Loop Header: Depth=1
	s_load_dwordx2 s[18:19], s[14:15], 0x0
                                        ; implicit-def: $vgpr9_vgpr10
	s_mov_b32 s0, exec_lo
	s_waitcnt lgkmcnt(0)
	v_or_b32_e32 v6, s19, v8
	v_cmpx_ne_u64_e32 0, v[5:6]
	s_xor_b32 s1, exec_lo, s0
	s_cbranch_execz .LBB0_4
; %bb.3:                                ;   in Loop: Header=BB0_2 Depth=1
	v_cvt_f32_u32_e32 v2, s18
	v_cvt_f32_u32_e32 v6, s19
	s_sub_u32 s0, 0, s18
	s_subb_u32 s20, 0, s19
	v_fmac_f32_e32 v2, 0x4f800000, v6
	v_rcp_f32_e32 v2, v2
	v_mul_f32_e32 v2, 0x5f7ffffc, v2
	v_mul_f32_e32 v6, 0x2f800000, v2
	v_trunc_f32_e32 v6, v6
	v_fmac_f32_e32 v2, 0xcf800000, v6
	v_cvt_u32_f32_e32 v6, v6
	v_cvt_u32_f32_e32 v2, v2
	v_mul_lo_u32 v9, s0, v6
	v_mul_hi_u32 v10, s0, v2
	v_mul_lo_u32 v11, s20, v2
	v_add_nc_u32_e32 v9, v10, v9
	v_mul_lo_u32 v10, s0, v2
	v_add_nc_u32_e32 v9, v9, v11
	v_mul_hi_u32 v11, v2, v10
	v_mul_lo_u32 v12, v2, v9
	v_mul_hi_u32 v13, v2, v9
	v_mul_hi_u32 v14, v6, v10
	v_mul_lo_u32 v10, v6, v10
	v_mul_hi_u32 v15, v6, v9
	v_mul_lo_u32 v9, v6, v9
	v_add_co_u32 v11, vcc_lo, v11, v12
	v_add_co_ci_u32_e32 v12, vcc_lo, 0, v13, vcc_lo
	v_add_co_u32 v10, vcc_lo, v11, v10
	v_add_co_ci_u32_e32 v10, vcc_lo, v12, v14, vcc_lo
	v_add_co_ci_u32_e32 v11, vcc_lo, 0, v15, vcc_lo
	v_add_co_u32 v9, vcc_lo, v10, v9
	v_add_co_ci_u32_e32 v10, vcc_lo, 0, v11, vcc_lo
	v_add_co_u32 v2, vcc_lo, v2, v9
	v_add_co_ci_u32_e32 v6, vcc_lo, v6, v10, vcc_lo
	v_mul_hi_u32 v9, s0, v2
	v_mul_lo_u32 v11, s20, v2
	v_mul_lo_u32 v10, s0, v6
	v_add_nc_u32_e32 v9, v9, v10
	v_mul_lo_u32 v10, s0, v2
	v_add_nc_u32_e32 v9, v9, v11
	v_mul_hi_u32 v11, v2, v10
	v_mul_lo_u32 v12, v2, v9
	v_mul_hi_u32 v13, v2, v9
	v_mul_hi_u32 v14, v6, v10
	v_mul_lo_u32 v10, v6, v10
	v_mul_hi_u32 v15, v6, v9
	v_mul_lo_u32 v9, v6, v9
	v_add_co_u32 v11, vcc_lo, v11, v12
	v_add_co_ci_u32_e32 v12, vcc_lo, 0, v13, vcc_lo
	v_add_co_u32 v10, vcc_lo, v11, v10
	v_add_co_ci_u32_e32 v10, vcc_lo, v12, v14, vcc_lo
	v_add_co_ci_u32_e32 v11, vcc_lo, 0, v15, vcc_lo
	v_add_co_u32 v9, vcc_lo, v10, v9
	v_add_co_ci_u32_e32 v10, vcc_lo, 0, v11, vcc_lo
	v_add_co_u32 v2, vcc_lo, v2, v9
	v_add_co_ci_u32_e32 v6, vcc_lo, v6, v10, vcc_lo
	v_mul_hi_u32 v15, v7, v2
	v_mad_u64_u32 v[11:12], null, v8, v2, 0
	v_mad_u64_u32 v[9:10], null, v7, v6, 0
	v_mad_u64_u32 v[13:14], null, v8, v6, 0
	v_add_co_u32 v2, vcc_lo, v15, v9
	v_add_co_ci_u32_e32 v6, vcc_lo, 0, v10, vcc_lo
	v_add_co_u32 v2, vcc_lo, v2, v11
	v_add_co_ci_u32_e32 v2, vcc_lo, v6, v12, vcc_lo
	v_add_co_ci_u32_e32 v6, vcc_lo, 0, v14, vcc_lo
	v_add_co_u32 v2, vcc_lo, v2, v13
	v_add_co_ci_u32_e32 v6, vcc_lo, 0, v6, vcc_lo
	v_mul_lo_u32 v11, s19, v2
	v_mad_u64_u32 v[9:10], null, s18, v2, 0
	v_mul_lo_u32 v12, s18, v6
	v_sub_co_u32 v9, vcc_lo, v7, v9
	v_add3_u32 v10, v10, v12, v11
	v_sub_nc_u32_e32 v11, v8, v10
	v_subrev_co_ci_u32_e64 v11, s0, s19, v11, vcc_lo
	v_add_co_u32 v12, s0, v2, 2
	v_add_co_ci_u32_e64 v13, s0, 0, v6, s0
	v_sub_co_u32 v14, s0, v9, s18
	v_sub_co_ci_u32_e32 v10, vcc_lo, v8, v10, vcc_lo
	v_subrev_co_ci_u32_e64 v11, s0, 0, v11, s0
	v_cmp_le_u32_e32 vcc_lo, s18, v14
	v_cmp_eq_u32_e64 s0, s19, v10
	v_cndmask_b32_e64 v14, 0, -1, vcc_lo
	v_cmp_le_u32_e32 vcc_lo, s19, v11
	v_cndmask_b32_e64 v15, 0, -1, vcc_lo
	v_cmp_le_u32_e32 vcc_lo, s18, v9
	;; [unrolled: 2-line block ×3, first 2 shown]
	v_cndmask_b32_e64 v16, 0, -1, vcc_lo
	v_cmp_eq_u32_e32 vcc_lo, s19, v11
	v_cndmask_b32_e64 v9, v16, v9, s0
	v_cndmask_b32_e32 v11, v15, v14, vcc_lo
	v_add_co_u32 v14, vcc_lo, v2, 1
	v_add_co_ci_u32_e32 v15, vcc_lo, 0, v6, vcc_lo
	v_cmp_ne_u32_e32 vcc_lo, 0, v11
	v_cndmask_b32_e32 v10, v15, v13, vcc_lo
	v_cndmask_b32_e32 v11, v14, v12, vcc_lo
	v_cmp_ne_u32_e32 vcc_lo, 0, v9
	v_cndmask_b32_e32 v10, v6, v10, vcc_lo
	v_cndmask_b32_e32 v9, v2, v11, vcc_lo
.LBB0_4:                                ;   in Loop: Header=BB0_2 Depth=1
	s_andn2_saveexec_b32 s0, s1
	s_cbranch_execz .LBB0_6
; %bb.5:                                ;   in Loop: Header=BB0_2 Depth=1
	v_cvt_f32_u32_e32 v2, s18
	s_sub_i32 s1, 0, s18
	v_rcp_iflag_f32_e32 v2, v2
	v_mul_f32_e32 v2, 0x4f7ffffe, v2
	v_cvt_u32_f32_e32 v2, v2
	v_mul_lo_u32 v6, s1, v2
	v_mul_hi_u32 v6, v2, v6
	v_add_nc_u32_e32 v2, v2, v6
	v_mul_hi_u32 v2, v7, v2
	v_mul_lo_u32 v6, v2, s18
	v_add_nc_u32_e32 v9, 1, v2
	v_sub_nc_u32_e32 v6, v7, v6
	v_subrev_nc_u32_e32 v10, s18, v6
	v_cmp_le_u32_e32 vcc_lo, s18, v6
	v_cndmask_b32_e32 v6, v6, v10, vcc_lo
	v_cndmask_b32_e32 v2, v2, v9, vcc_lo
	v_mov_b32_e32 v10, v5
	v_cmp_le_u32_e32 vcc_lo, s18, v6
	v_add_nc_u32_e32 v9, 1, v2
	v_cndmask_b32_e32 v9, v2, v9, vcc_lo
.LBB0_6:                                ;   in Loop: Header=BB0_2 Depth=1
	s_or_b32 exec_lo, exec_lo, s0
	s_load_dwordx2 s[0:1], s[6:7], 0x0
	v_mul_lo_u32 v2, v10, s18
	v_mul_lo_u32 v6, v9, s19
	v_mad_u64_u32 v[11:12], null, v9, s18, 0
	s_add_u32 s16, s16, 1
	s_addc_u32 s17, s17, 0
	s_add_u32 s6, s6, 8
	s_addc_u32 s7, s7, 0
	;; [unrolled: 2-line block ×3, first 2 shown]
	v_add3_u32 v2, v12, v6, v2
	v_sub_co_u32 v6, vcc_lo, v7, v11
	v_sub_co_ci_u32_e32 v2, vcc_lo, v8, v2, vcc_lo
	s_waitcnt lgkmcnt(0)
	v_mul_lo_u32 v7, s1, v6
	v_mul_lo_u32 v2, s0, v2
	v_mad_u64_u32 v[3:4], null, s0, v6, v[3:4]
	v_cmp_ge_u64_e64 s0, s[16:17], s[10:11]
	s_and_b32 vcc_lo, exec_lo, s0
	v_add3_u32 v4, v7, v4, v2
	s_cbranch_vccnz .LBB0_8
; %bb.7:                                ;   in Loop: Header=BB0_2 Depth=1
	v_mov_b32_e32 v7, v9
	v_mov_b32_e32 v8, v10
	s_branch .LBB0_2
.LBB0_8:
	s_lshl_b64 s[0:1], s[10:11], 3
	v_mul_hi_u32 v2, 0xaaaaaaab, v1
	s_add_u32 s0, s12, s0
	s_addc_u32 s1, s13, s1
	v_mul_hi_u32 v5, 0x6906907, v0
	s_load_dwordx2 s[0:1], s[0:1], 0x0
	s_load_dwordx2 s[4:5], s[4:5], 0x20
	v_lshrrev_b32_e32 v6, 1, v2
	v_mul_u32_u24_e32 v5, 39, v5
	v_sub_nc_u32_e32 v80, v0, v5
	v_add_nc_u32_e32 v84, 39, v80
	s_waitcnt lgkmcnt(0)
	v_mul_lo_u32 v7, s0, v10
	v_mul_lo_u32 v8, s1, v9
	v_mad_u64_u32 v[2:3], null, s0, v9, v[3:4]
	v_lshl_add_u32 v4, v6, 1, v6
	v_cmp_gt_u64_e32 vcc_lo, s[4:5], v[9:10]
	v_cmp_le_u64_e64 s0, s[4:5], v[9:10]
	v_sub_nc_u32_e32 v0, v1, v4
	v_add3_u32 v3, v8, v3, v7
	s_and_saveexec_b32 s1, s0
	s_xor_b32 s0, exec_lo, s1
; %bb.9:
	v_add_nc_u32_e32 v84, 39, v80
; %bb.10:
	s_or_saveexec_b32 s1, s0
	v_mul_u32_u24_e32 v120, 0x223, v0
	v_lshlrev_b64 v[82:83], 4, v[2:3]
	v_lshlrev_b32_e32 v119, 4, v80
	v_lshlrev_b32_e32 v123, 4, v120
	s_xor_b32 exec_lo, exec_lo, s1
	s_cbranch_execz .LBB0_12
; %bb.11:
	v_mov_b32_e32 v81, 0
	v_add_co_u32 v2, s0, s2, v82
	v_add_co_ci_u32_e64 v3, s0, s3, v83, s0
	v_lshlrev_b64 v[0:1], 4, v[80:81]
	v_add3_u32 v56, 0, v123, v119
	v_add_co_u32 v16, s0, v2, v0
	v_add_co_ci_u32_e64 v17, s0, v3, v1, s0
	s_clause 0x3
	global_load_dwordx4 v[0:3], v[16:17], off
	global_load_dwordx4 v[4:7], v[16:17], off offset:624
	global_load_dwordx4 v[8:11], v[16:17], off offset:1248
	;; [unrolled: 1-line block ×3, first 2 shown]
	v_add_co_u32 v24, s0, 0x800, v16
	v_add_co_ci_u32_e64 v25, s0, 0, v17, s0
	v_add_co_u32 v36, s0, 0x1000, v16
	v_add_co_ci_u32_e64 v37, s0, 0, v17, s0
	;; [unrolled: 2-line block ×3, first 2 shown]
	s_clause 0x9
	global_load_dwordx4 v[16:19], v[24:25], off offset:448
	global_load_dwordx4 v[20:23], v[24:25], off offset:1072
	;; [unrolled: 1-line block ×10, first 2 shown]
	s_waitcnt vmcnt(13)
	ds_write_b128 v56, v[0:3]
	s_waitcnt vmcnt(12)
	ds_write_b128 v56, v[4:7] offset:624
	s_waitcnt vmcnt(11)
	ds_write_b128 v56, v[8:11] offset:1248
	;; [unrolled: 2-line block ×13, first 2 shown]
.LBB0_12:
	s_or_b32 exec_lo, exec_lo, s1
	v_add_nc_u32_e32 v122, 0, v119
	v_add_nc_u32_e32 v118, 0, v123
	s_waitcnt lgkmcnt(0)
	s_barrier
	buffer_gl0_inv
	v_add_nc_u32_e32 v121, v122, v123
	v_add_nc_u32_e32 v117, v118, v119
	s_mov_b32 s0, 0x4267c47c
	s_mov_b32 s4, 0xe00740e9
	;; [unrolled: 1-line block ×3, first 2 shown]
	ds_read_b128 v[4:7], v121 offset:672
	ds_read_b128 v[8:11], v117
	ds_read_b128 v[0:3], v121 offset:624
	ds_read_b128 v[12:15], v121 offset:1296
	;; [unrolled: 1-line block ×4, first 2 shown]
	s_mov_b32 s5, 0x3fec55a7
	s_mov_b32 s16, 0x42a4c3d2
	;; [unrolled: 1-line block ×16, first 2 shown]
	s_waitcnt lgkmcnt(4)
	v_add_f64 v[20:21], v[8:9], v[4:5]
	v_add_f64 v[22:23], v[10:11], v[6:7]
	s_waitcnt lgkmcnt(2)
	v_add_f64 v[24:25], v[0:1], v[12:13]
	v_add_f64 v[26:27], v[2:3], v[14:15]
	s_mov_b32 s24, 0xb2365da1
	s_mov_b32 s6, 0xd0032e0c
	;; [unrolled: 1-line block ×17, first 2 shown]
	v_mad_u32_u24 v81, 0xd0, v80, v118
	s_waitcnt lgkmcnt(1)
	v_add_f64 v[40:41], v[20:21], v[16:17]
	v_add_f64 v[42:43], v[22:23], v[18:19]
	s_waitcnt lgkmcnt(0)
	v_add_f64 v[48:49], v[24:25], v[54:55]
	v_add_f64 v[50:51], v[26:27], v[56:57]
	ds_read_b128 v[20:23], v121 offset:2016
	ds_read_b128 v[44:47], v121 offset:2640
	;; [unrolled: 1-line block ×20, first 2 shown]
	s_waitcnt lgkmcnt(0)
	s_barrier
	buffer_gl0_inv
	v_add_f64 v[93:94], v[113:114], v[124:125]
	v_add_f64 v[89:90], v[115:116], v[126:127]
	v_add_f64 v[95:96], v[113:114], -v[124:125]
	v_add_f64 v[99:100], v[115:116], -v[126:127]
	v_add_f64 v[85:86], v[30:31], v[130:131]
	v_add_f64 v[103:104], v[30:31], -v[130:131]
	v_add_f64 v[87:88], v[28:29], v[128:129]
	v_add_f64 v[40:41], v[40:41], v[20:21]
	;; [unrolled: 1-line block ×6, first 2 shown]
	v_add_f64 v[6:7], v[6:7], -v[170:171]
	v_add_f64 v[76:77], v[24:25], v[144:145]
	v_add_f64 v[101:102], v[24:25], -v[144:145]
	v_add_f64 v[66:67], v[16:17], v[160:161]
	v_add_f64 v[64:65], v[18:19], v[162:163]
	v_add_f64 v[109:110], v[16:17], -v[160:161]
	v_add_f64 v[68:69], v[18:19], -v[162:163]
	v_add_f64 v[78:79], v[4:5], v[168:169]
	v_add_f64 v[4:5], v[4:5], -v[168:169]
	v_add_f64 v[16:17], v[132:133], v[136:137]
	;; [unrolled: 2-line block ×3, first 2 shown]
	v_add_f64 v[62:63], v[12:13], -v[172:173]
	v_add_f64 v[60:61], v[14:15], -v[174:175]
	v_add_f64 v[70:71], v[22:23], v[154:155]
	v_add_f64 v[111:112], v[22:23], -v[154:155]
	v_add_f64 v[97:98], v[28:29], -v[128:129]
	v_add_f64 v[40:41], v[40:41], v[24:25]
	v_add_f64 v[42:43], v[42:43], v[26:27]
	;; [unrolled: 1-line block ×4, first 2 shown]
	v_add_f64 v[24:25], v[132:133], -v[136:137]
	v_add_f64 v[72:73], v[26:27], v[146:147]
	v_add_f64 v[74:75], v[26:27], -v[146:147]
	v_add_f64 v[105:106], v[20:21], v[152:153]
	v_add_f64 v[107:108], v[20:21], -v[152:153]
	v_mul_f64 v[194:195], v[64:65], s[10:11]
	v_add_f64 v[20:21], v[32:33], v[140:141]
	v_mul_f64 v[192:193], v[68:69], s[16:17]
	v_add_f64 v[22:23], v[34:35], v[142:143]
	v_add_f64 v[18:19], v[134:135], v[138:139]
	v_add_f64 v[26:27], v[134:135], -v[138:139]
	v_mul_f64 v[184:185], v[91:92], s[10:11]
	v_mul_f64 v[186:187], v[91:92], s[14:15]
	;; [unrolled: 1-line block ×7, first 2 shown]
	v_add_f64 v[176:177], v[40:41], v[28:29]
	v_add_f64 v[178:179], v[42:43], v[30:31]
	v_add_f64 v[180:181], v[48:49], v[32:33]
	v_add_f64 v[182:183], v[50:51], v[34:35]
	v_add_f64 v[30:31], v[38:39], v[150:151]
	v_add_f64 v[42:43], v[38:39], -v[150:151]
	v_add_f64 v[38:39], v[46:47], v[158:159]
	v_add_f64 v[48:49], v[46:47], -v[158:159]
	v_add_f64 v[46:47], v[56:57], v[166:167]
	v_add_f64 v[56:57], v[12:13], v[172:173]
	v_add_f64 v[32:33], v[32:33], -v[140:141]
	v_add_f64 v[34:35], v[34:35], -v[142:143]
	v_mul_f64 v[200:201], v[74:75], s[30:31]
	v_mul_f64 v[202:203], v[72:73], s[24:25]
	v_add_f64 v[28:29], v[36:37], v[148:149]
	v_add_f64 v[40:41], v[36:37], -v[148:149]
	v_mul_f64 v[210:211], v[64:65], s[24:25]
	v_fma_f64 v[228:229], v[4:5], s[22:23], v[186:187]
	v_mul_f64 v[206:207], v[89:90], s[20:21]
	v_mul_f64 v[212:213], v[111:112], s[26:27]
	;; [unrolled: 1-line block ×3, first 2 shown]
	v_add_f64 v[36:37], v[44:45], v[156:157]
	v_add_f64 v[12:13], v[176:177], v[113:114]
	;; [unrolled: 1-line block ×5, first 2 shown]
	v_mul_f64 v[132:133], v[6:7], s[0:1]
	v_mul_f64 v[180:181], v[91:92], s[4:5]
	;; [unrolled: 1-line block ×8, first 2 shown]
	v_add_f64 v[50:51], v[44:45], -v[156:157]
	v_mul_f64 v[216:217], v[74:75], s[28:29]
	v_mul_f64 v[218:219], v[72:73], s[6:7]
	;; [unrolled: 1-line block ×3, first 2 shown]
	v_add_f64 v[44:45], v[54:55], v[164:165]
	v_add_f64 v[54:55], v[54:55], -v[164:165]
	v_add_f64 v[12:13], v[12:13], v[124:125]
	v_add_f64 v[14:15], v[14:15], v[126:127]
	;; [unrolled: 1-line block ×4, first 2 shown]
	v_fma_f64 v[126:127], v[78:79], s[4:5], v[132:133]
	v_fma_f64 v[204:205], v[4:5], s[18:19], v[180:181]
	v_fma_f64 v[132:133], v[78:79], s[4:5], -v[132:133]
	v_fma_f64 v[180:181], v[4:5], s[0:1], v[180:181]
	v_mul_f64 v[124:125], v[103:104], s[12:13]
	v_mul_f64 v[136:137], v[85:86], s[6:7]
	v_fma_f64 v[222:223], v[78:79], s[10:11], v[134:135]
	v_fma_f64 v[134:135], v[78:79], s[10:11], -v[134:135]
	v_fma_f64 v[224:225], v[78:79], s[14:15], v[176:177]
	v_fma_f64 v[226:227], v[78:79], s[20:21], v[6:7]
	v_mul_f64 v[138:139], v[99:100], s[26:27]
	v_add_f64 v[12:13], v[12:13], v[128:129]
	v_add_f64 v[14:15], v[14:15], v[130:131]
	;; [unrolled: 1-line block ×4, first 2 shown]
	v_fma_f64 v[128:129], v[66:67], s[10:11], v[192:193]
	v_add_f64 v[126:127], v[8:9], v[126:127]
	v_fma_f64 v[140:141], v[109:110], s[38:39], v[194:195]
	v_add_f64 v[142:143], v[10:11], v[204:205]
	v_fma_f64 v[192:193], v[66:67], s[10:11], -v[192:193]
	v_add_f64 v[132:133], v[8:9], v[132:133]
	v_fma_f64 v[194:195], v[109:110], s[16:17], v[194:195]
	v_add_f64 v[180:181], v[10:11], v[180:181]
	v_fma_f64 v[130:131], v[78:79], s[14:15], -v[176:177]
	v_fma_f64 v[176:177], v[78:79], s[24:25], v[178:179]
	v_fma_f64 v[178:179], v[78:79], s[24:25], -v[178:179]
	v_fma_f64 v[204:205], v[78:79], s[6:7], v[182:183]
	v_fma_f64 v[182:183], v[78:79], s[6:7], -v[182:183]
	v_fma_f64 v[78:79], v[78:79], s[20:21], -v[6:7]
	v_fma_f64 v[6:7], v[4:5], s[38:39], v[184:185]
	v_fma_f64 v[184:185], v[4:5], s[16:17], v[184:185]
	v_add_f64 v[134:135], v[8:9], v[134:135]
	v_add_f64 v[12:13], v[12:13], v[144:145]
	;; [unrolled: 1-line block ×3, first 2 shown]
	v_fma_f64 v[144:145], v[105:106], s[14:15], v[196:197]
	v_add_f64 v[115:116], v[115:116], v[150:151]
	v_fma_f64 v[146:147], v[107:108], s[22:23], v[198:199]
	v_add_f64 v[126:127], v[128:129], v[126:127]
	v_add_f64 v[113:114], v[113:114], v[148:149]
	;; [unrolled: 1-line block ×3, first 2 shown]
	v_fma_f64 v[128:129], v[4:5], s[36:37], v[186:187]
	v_fma_f64 v[142:143], v[4:5], s[34:35], v[188:189]
	v_fma_f64 v[148:149], v[105:106], s[14:15], -v[196:197]
	v_add_f64 v[132:133], v[192:193], v[132:133]
	v_fma_f64 v[150:151], v[107:108], s[36:37], v[198:199]
	v_add_f64 v[180:181], v[194:195], v[180:181]
	v_fma_f64 v[186:187], v[4:5], s[30:31], v[188:189]
	v_fma_f64 v[188:189], v[4:5], s[28:29], v[190:191]
	;; [unrolled: 1-line block ×8, first 2 shown]
	v_add_f64 v[12:13], v[12:13], v[152:153]
	v_add_f64 v[14:15], v[14:15], v[154:155]
	v_fma_f64 v[152:153], v[97:98], s[28:29], v[136:137]
	v_add_f64 v[115:116], v[115:116], v[158:159]
	v_fma_f64 v[154:155], v[101:102], s[30:31], v[202:203]
	v_add_f64 v[126:127], v[144:145], v[126:127]
	v_add_f64 v[113:114], v[113:114], v[156:157]
	;; [unrolled: 1-line block ×3, first 2 shown]
	v_fma_f64 v[144:145], v[76:77], s[24:25], -v[200:201]
	v_fma_f64 v[146:147], v[66:67], s[24:25], v[208:209]
	v_add_f64 v[198:199], v[8:9], v[222:223]
	v_add_f64 v[132:133], v[148:149], v[132:133]
	;; [unrolled: 1-line block ×4, first 2 shown]
	v_fma_f64 v[150:151], v[109:110], s[34:35], v[210:211]
	v_fma_f64 v[124:125], v[87:88], s[6:7], -v[124:125]
	v_fma_f64 v[136:137], v[97:98], s[12:13], v[136:137]
	v_fma_f64 v[156:157], v[105:106], s[20:21], v[212:213]
	;; [unrolled: 1-line block ×3, first 2 shown]
	v_fma_f64 v[180:181], v[66:67], s[24:25], -v[208:209]
	v_add_f64 v[184:185], v[10:11], v[184:185]
	v_add_f64 v[130:131], v[8:9], v[130:131]
	;; [unrolled: 1-line block ×20, first 2 shown]
	v_mul_f64 v[190:191], v[64:65], s[6:7]
	v_add_f64 v[134:135], v[180:181], v[134:135]
	v_mul_f64 v[180:181], v[68:69], s[28:29]
	v_add_f64 v[148:149], v[8:9], v[178:179]
	v_add_f64 v[113:114], v[12:13], v[168:169]
	v_add_f64 v[115:116], v[14:15], v[170:171]
	v_fma_f64 v[168:169], v[109:110], s[30:31], v[210:211]
	v_add_f64 v[6:7], v[162:163], v[174:175]
	v_mul_f64 v[162:163], v[64:65], s[20:21]
	v_add_f64 v[14:15], v[196:197], v[126:127]
	v_fma_f64 v[126:127], v[93:94], s[20:21], v[138:139]
	v_add_f64 v[140:141], v[152:153], v[140:141]
	v_fma_f64 v[152:153], v[95:96], s[40:41], v[206:207]
	v_add_f64 v[4:5], v[160:161], v[172:173]
	v_fma_f64 v[138:139], v[93:94], s[20:21], -v[138:139]
	v_add_f64 v[132:133], v[124:125], v[132:133]
	v_fma_f64 v[170:171], v[105:106], s[20:21], -v[212:213]
	v_add_f64 v[136:137], v[136:137], v[144:145]
	v_fma_f64 v[144:145], v[95:96], s[26:27], v[206:207]
	v_add_f64 v[172:173], v[8:9], v[78:79]
	v_add_f64 v[78:79], v[156:157], v[146:147]
	v_fma_f64 v[146:147], v[76:77], s[6:7], v[216:217]
	v_fma_f64 v[156:157], v[66:67], s[20:21], v[220:221]
	v_mul_f64 v[174:175], v[111:112], s[34:35]
	v_add_f64 v[150:151], v[158:159], v[150:151]
	v_fma_f64 v[158:159], v[101:102], s[12:13], v[218:219]
	v_add_f64 v[178:179], v[8:9], v[204:205]
	v_add_f64 v[182:183], v[8:9], v[182:183]
	;; [unrolled: 1-line block ×5, first 2 shown]
	v_mul_f64 v[200:201], v[72:73], s[4:5]
	v_add_f64 v[124:125], v[126:127], v[14:15]
	v_mul_f64 v[14:15], v[103:104], s[22:23]
	v_add_f64 v[126:127], v[152:153], v[140:141]
	v_fma_f64 v[140:141], v[109:110], s[40:41], v[162:163]
	v_mul_f64 v[152:153], v[70:71], s[24:25]
	v_add_f64 v[8:9], v[138:139], v[132:133]
	v_fma_f64 v[132:133], v[66:67], s[20:21], -v[220:221]
	v_fma_f64 v[138:139], v[109:110], s[26:27], v[162:163]
	v_add_f64 v[10:11], v[144:145], v[136:137]
	v_add_f64 v[136:137], v[168:169], v[184:185]
	;; [unrolled: 1-line block ×3, first 2 shown]
	v_fma_f64 v[144:145], v[107:108], s[26:27], v[214:215]
	v_fma_f64 v[162:163], v[76:77], s[6:7], -v[216:217]
	v_add_f64 v[78:79], v[146:147], v[78:79]
	v_add_f64 v[146:147], v[156:157], v[164:165]
	v_fma_f64 v[156:157], v[105:106], s[24:25], v[174:175]
	v_mul_f64 v[164:165], v[74:75], s[18:19]
	v_add_f64 v[150:151], v[158:159], v[150:151]
	v_fma_f64 v[158:159], v[66:67], s[6:7], v[180:181]
	v_fma_f64 v[168:169], v[109:110], s[12:13], v[190:191]
	v_mul_f64 v[170:171], v[111:112], s[18:19]
	v_mul_f64 v[184:185], v[70:71], s[4:5]
	;; [unrolled: 1-line block ×3, first 2 shown]
	v_fma_f64 v[194:195], v[87:88], s[14:15], v[14:15]
	v_fma_f64 v[14:15], v[87:88], s[14:15], -v[14:15]
	v_add_f64 v[140:141], v[140:141], v[166:167]
	v_fma_f64 v[166:167], v[107:108], s[30:31], v[152:153]
	v_mul_f64 v[202:203], v[72:73], s[14:15]
	v_add_f64 v[130:131], v[132:133], v[130:131]
	v_add_f64 v[128:129], v[138:139], v[128:129]
	v_fma_f64 v[132:133], v[105:106], s[24:25], -v[174:175]
	v_fma_f64 v[138:139], v[107:108], s[34:35], v[152:153]
	v_mul_f64 v[204:205], v[64:65], s[14:15]
	v_add_f64 v[136:137], v[144:145], v[136:137]
	v_add_f64 v[134:135], v[162:163], v[134:135]
	v_fma_f64 v[144:145], v[101:102], s[28:29], v[218:219]
	v_mul_f64 v[162:163], v[103:104], s[16:17]
	v_add_f64 v[146:147], v[156:157], v[146:147]
	v_fma_f64 v[156:157], v[76:77], s[4:5], v[164:165]
	v_mul_f64 v[218:219], v[70:71], s[6:7]
	v_add_f64 v[158:159], v[158:159], v[176:177]
	v_add_f64 v[142:143], v[168:169], v[142:143]
	v_fma_f64 v[168:169], v[105:106], s[4:5], v[170:171]
	v_fma_f64 v[174:175], v[107:108], s[0:1], v[184:185]
	v_mul_f64 v[176:177], v[74:75], s[36:37]
	v_add_f64 v[194:195], v[194:195], v[78:79]
	v_fma_f64 v[196:197], v[97:98], s[36:37], v[91:92]
	v_fma_f64 v[91:92], v[97:98], s[22:23], v[91:92]
	v_add_f64 v[78:79], v[166:167], v[140:141]
	v_fma_f64 v[140:141], v[101:102], s[0:1], v[200:201]
	v_mul_f64 v[166:167], v[85:86], s[10:11]
	v_mul_f64 v[216:217], v[72:73], s[20:21]
	v_add_f64 v[130:131], v[132:133], v[130:131]
	v_add_f64 v[128:129], v[138:139], v[128:129]
	v_fma_f64 v[132:133], v[76:77], s[4:5], -v[164:165]
	v_fma_f64 v[138:139], v[101:102], s[18:19], v[200:201]
	v_add_f64 v[14:15], v[14:15], v[134:135]
	v_add_f64 v[136:137], v[144:145], v[136:137]
	v_fma_f64 v[144:145], v[66:67], s[6:7], -v[180:181]
	v_fma_f64 v[180:181], v[109:110], s[28:29], v[190:191]
	v_add_f64 v[134:135], v[156:157], v[146:147]
	v_fma_f64 v[146:147], v[87:88], s[10:11], v[162:163]
	v_mul_f64 v[190:191], v[85:86], s[20:21]
	v_mul_f64 v[200:201], v[68:69], s[22:23]
	v_add_f64 v[156:157], v[168:169], v[158:159]
	v_add_f64 v[142:143], v[174:175], v[142:143]
	v_fma_f64 v[158:159], v[76:77], s[14:15], v[176:177]
	v_fma_f64 v[168:169], v[101:102], s[22:23], v[202:203]
	v_mul_f64 v[174:175], v[103:104], s[40:41]
	v_mul_f64 v[208:209], v[89:90], s[6:7]
	;; [unrolled: 1-line block ×3, first 2 shown]
	v_add_f64 v[78:79], v[140:141], v[78:79]
	v_fma_f64 v[140:141], v[97:98], s[38:39], v[166:167]
	v_fma_f64 v[220:221], v[101:102], s[26:27], v[216:217]
	v_mul_f64 v[152:153], v[89:90], s[4:5]
	v_mul_f64 v[206:207], v[99:100], s[12:13]
	v_add_f64 v[130:131], v[132:133], v[130:131]
	v_add_f64 v[128:129], v[138:139], v[128:129]
	v_fma_f64 v[132:133], v[87:88], s[10:11], -v[162:163]
	v_fma_f64 v[138:139], v[97:98], s[16:17], v[166:167]
	v_add_f64 v[144:145], v[144:145], v[148:149]
	v_add_f64 v[148:149], v[180:181], v[154:155]
	v_fma_f64 v[154:155], v[105:106], s[4:5], -v[170:171]
	v_fma_f64 v[162:163], v[107:108], s[18:19], v[184:185]
	v_add_f64 v[166:167], v[91:92], v[136:137]
	v_add_f64 v[134:135], v[146:147], v[134:135]
	v_fma_f64 v[170:171], v[109:110], s[36:37], v[204:205]
	v_mul_f64 v[180:181], v[111:112], s[16:17]
	v_add_f64 v[146:147], v[158:159], v[156:157]
	v_add_f64 v[142:143], v[168:169], v[142:143]
	v_fma_f64 v[156:157], v[87:88], s[20:21], v[174:175]
	v_fma_f64 v[158:159], v[97:98], s[26:27], v[190:191]
	;; [unrolled: 1-line block ×3, first 2 shown]
	v_mul_f64 v[184:185], v[70:71], s[10:11]
	v_add_f64 v[140:141], v[140:141], v[78:79]
	v_mul_f64 v[78:79], v[60:61], s[0:1]
	v_mul_f64 v[91:92], v[62:63], s[0:1]
	v_fma_f64 v[200:201], v[66:67], s[14:15], -v[200:201]
	v_fma_f64 v[204:205], v[109:110], s[22:23], v[204:205]
	v_mul_f64 v[111:112], v[111:112], s[12:13]
	v_add_f64 v[130:131], v[132:133], v[130:131]
	v_add_f64 v[214:215], v[138:139], v[128:129]
	v_fma_f64 v[138:139], v[76:77], s[14:15], -v[176:177]
	v_mul_f64 v[70:71], v[50:51], s[36:37]
	v_add_f64 v[128:129], v[154:155], v[144:145]
	v_add_f64 v[132:133], v[162:163], v[148:149]
	v_fma_f64 v[144:145], v[101:102], s[36:37], v[202:203]
	v_mul_f64 v[148:149], v[68:69], s[18:19]
	v_mul_f64 v[154:155], v[64:65], s[4:5]
	;; [unrolled: 1-line block ×4, first 2 shown]
	v_fma_f64 v[174:175], v[87:88], s[20:21], -v[174:175]
	v_add_f64 v[146:147], v[156:157], v[146:147]
	v_add_f64 v[142:143], v[158:159], v[142:143]
	v_add_f64 v[156:157], v[168:169], v[178:179]
	v_add_f64 v[158:159], v[170:171], v[186:187]
	v_fma_f64 v[168:169], v[105:106], s[10:11], v[180:181]
	v_fma_f64 v[170:171], v[107:108], s[38:39], v[184:185]
	;; [unrolled: 1-line block ×3, first 2 shown]
	v_fma_f64 v[202:203], v[58:59], s[4:5], -v[91:92]
	v_mul_f64 v[178:179], v[74:75], s[40:41]
	v_add_f64 v[182:183], v[200:201], v[182:183]
	v_add_f64 v[188:189], v[204:205], v[188:189]
	v_fma_f64 v[180:181], v[105:106], s[10:11], -v[180:181]
	v_fma_f64 v[184:185], v[107:108], s[16:17], v[184:185]
	v_mul_f64 v[200:201], v[74:75], s[38:39]
	v_add_f64 v[128:129], v[138:139], v[128:129]
	v_mul_f64 v[204:205], v[72:73], s[10:11]
	v_add_f64 v[132:133], v[144:145], v[132:133]
	v_fma_f64 v[138:139], v[66:67], s[4:5], v[148:149]
	v_fma_f64 v[144:145], v[109:110], s[0:1], v[154:155]
	v_fma_f64 v[148:149], v[66:67], s[4:5], -v[148:149]
	v_fma_f64 v[109:110], v[109:110], s[18:19], v[154:155]
	v_mul_f64 v[66:67], v[48:49], s[36:37]
	v_mul_f64 v[72:73], v[42:43], s[30:31]
	v_mul_f64 v[74:75], v[40:41], s[30:31]
	v_fma_f64 v[190:191], v[97:98], s[40:41], v[190:191]
	v_fma_f64 v[210:211], v[95:96], s[28:29], v[208:209]
	v_add_f64 v[154:155], v[168:169], v[156:157]
	v_add_f64 v[156:157], v[170:171], v[158:159]
	v_add_f64 v[168:169], v[0:1], v[186:187]
	v_fma_f64 v[170:171], v[44:45], s[10:11], v[64:65]
	v_add_f64 v[186:187], v[2:3], v[202:203]
	v_fma_f64 v[202:203], v[46:47], s[10:11], -v[68:69]
	v_fma_f64 v[158:159], v[76:77], s[20:21], v[178:179]
	v_add_f64 v[180:181], v[180:181], v[182:183]
	v_add_f64 v[182:183], v[184:185], v[188:189]
	v_fma_f64 v[178:179], v[76:77], s[20:21], -v[178:179]
	v_fma_f64 v[184:185], v[101:102], s[40:41], v[216:217]
	v_mul_f64 v[188:189], v[85:86], s[24:25]
	v_mul_f64 v[212:213], v[99:100], s[38:39]
	v_add_f64 v[12:13], v[138:139], v[12:13]
	v_add_f64 v[138:139], v[144:145], v[160:161]
	v_fma_f64 v[144:145], v[105:106], s[6:7], v[111:112]
	v_fma_f64 v[160:161], v[107:108], s[28:29], v[218:219]
	v_add_f64 v[148:149], v[148:149], v[172:173]
	v_add_f64 v[109:110], v[109:110], v[192:193]
	v_fma_f64 v[105:106], v[105:106], s[6:7], -v[111:112]
	v_fma_f64 v[107:108], v[107:108], s[12:13], v[218:219]
	v_fma_f64 v[172:173], v[36:37], s[14:15], v[66:67]
	;; [unrolled: 1-line block ×3, first 2 shown]
	v_mul_f64 v[208:209], v[89:90], s[10:11]
	v_add_f64 v[174:175], v[174:175], v[128:129]
	v_add_f64 v[168:169], v[170:171], v[168:169]
	v_add_f64 v[156:157], v[220:221], v[156:157]
	v_add_f64 v[170:171], v[202:203], v[186:187]
	v_fma_f64 v[186:187], v[38:39], s[14:15], -v[70:71]
	v_add_f64 v[111:112], v[158:159], v[154:155]
	v_mul_f64 v[154:155], v[103:104], s[18:19]
	v_mul_f64 v[158:159], v[85:86], s[4:5]
	;; [unrolled: 1-line block ×5, first 2 shown]
	v_add_f64 v[178:179], v[178:179], v[180:181]
	v_add_f64 v[180:181], v[184:185], v[182:183]
	;; [unrolled: 1-line block ×3, first 2 shown]
	v_fma_f64 v[144:145], v[76:77], s[10:11], v[200:201]
	v_add_f64 v[138:139], v[160:161], v[138:139]
	v_fma_f64 v[160:161], v[101:102], s[16:17], v[204:205]
	v_add_f64 v[105:106], v[105:106], v[148:149]
	v_add_f64 v[107:108], v[107:108], v[109:110]
	v_fma_f64 v[109:110], v[76:77], s[10:11], -v[200:201]
	v_mul_f64 v[76:77], v[34:35], s[12:13]
	v_fma_f64 v[101:102], v[101:102], s[38:39], v[204:205]
	v_mul_f64 v[200:201], v[99:100], s[30:31]
	v_add_f64 v[168:169], v[172:173], v[168:169]
	v_fma_f64 v[172:173], v[28:29], s[24:25], v[72:73]
	v_mul_f64 v[99:100], v[99:100], s[22:23]
	v_add_f64 v[170:171], v[186:187], v[170:171]
	v_fma_f64 v[186:187], v[30:31], s[24:25], -v[74:75]
	v_fma_f64 v[148:149], v[87:88], s[4:5], v[154:155]
	v_fma_f64 v[154:155], v[87:88], s[4:5], -v[154:155]
	v_mul_f64 v[182:183], v[89:90], s[14:15]
	v_add_f64 v[184:185], v[190:191], v[132:133]
	v_mul_f64 v[89:90], v[24:25], s[26:27]
	v_fma_f64 v[192:193], v[97:98], s[0:1], v[158:159]
	v_fma_f64 v[158:159], v[97:98], s[18:19], v[158:159]
	v_fma_f64 v[136:137], v[93:94], s[4:5], -v[198:199]
	v_add_f64 v[12:13], v[144:145], v[12:13]
	v_fma_f64 v[144:145], v[87:88], s[24:25], v[103:104]
	v_fma_f64 v[103:104], v[87:88], s[24:25], -v[103:104]
	v_mul_f64 v[87:88], v[26:27], s[26:27]
	v_add_f64 v[138:139], v[160:161], v[138:139]
	v_add_f64 v[105:106], v[109:110], v[105:106]
	v_fma_f64 v[132:133], v[20:21], s[6:7], v[76:77]
	v_fma_f64 v[160:161], v[97:98], s[34:35], v[188:189]
	v_add_f64 v[101:102], v[101:102], v[107:108]
	v_fma_f64 v[97:98], v[97:98], s[30:31], v[188:189]
	v_add_f64 v[109:110], v[172:173], v[168:169]
	v_fma_f64 v[168:169], v[22:23], s[6:7], -v[85:86]
	v_fma_f64 v[172:173], v[95:96], s[34:35], v[202:203]
	v_add_f64 v[128:129], v[186:187], v[170:171]
	v_fma_f64 v[170:171], v[93:94], s[24:25], v[200:201]
	v_add_f64 v[154:155], v[154:155], v[178:179]
	v_fma_f64 v[178:179], v[93:94], s[24:25], -v[200:201]
	v_fma_f64 v[188:189], v[95:96], s[30:31], v[202:203]
	v_fma_f64 v[204:205], v[18:19], s[20:21], -v[89:90]
	v_add_f64 v[150:151], v[196:197], v[150:151]
	v_fma_f64 v[196:197], v[93:94], s[4:5], v[198:199]
	v_fma_f64 v[164:165], v[95:96], s[0:1], v[152:153]
	;; [unrolled: 1-line block ×3, first 2 shown]
	v_add_f64 v[12:13], v[144:145], v[12:13]
	v_fma_f64 v[144:145], v[93:94], s[14:15], v[99:100]
	v_fma_f64 v[202:203], v[16:17], s[20:21], v[87:88]
	v_fma_f64 v[162:163], v[93:94], s[6:7], -v[206:207]
	v_fma_f64 v[206:207], v[93:94], s[10:11], v[212:213]
	v_fma_f64 v[107:108], v[95:96], s[16:17], v[208:209]
	v_add_f64 v[148:149], v[148:149], v[111:112]
	v_add_f64 v[156:157], v[192:193], v[156:157]
	;; [unrolled: 1-line block ×4, first 2 shown]
	v_fma_f64 v[160:161], v[95:96], s[36:37], v[182:183]
	v_add_f64 v[158:159], v[158:159], v[180:181]
	v_add_f64 v[168:169], v[168:169], v[128:129]
	;; [unrolled: 1-line block ×4, first 2 shown]
	v_fma_f64 v[99:100], v[93:94], s[14:15], -v[99:100]
	v_fma_f64 v[182:183], v[95:96], s[22:23], v[182:183]
	v_fma_f64 v[190:191], v[93:94], s[10:11], -v[212:213]
	v_fma_f64 v[192:193], v[95:96], s[38:39], v[208:209]
	v_fma_f64 v[152:153], v[95:96], s[18:19], v[152:153]
	v_add_f64 v[97:98], v[136:137], v[14:15]
	v_add_f64 v[93:94], v[196:197], v[194:195]
	;; [unrolled: 1-line block ×22, first 2 shown]
	s_mov_b32 s1, exec_lo
	ds_write_b128 v81, v[113:116]
	ds_write_b128 v81, v[124:127] offset:16
	ds_write_b128 v81, v[93:96] offset:32
	;; [unrolled: 1-line block ×12, first 2 shown]
	v_cmpx_gt_u32_e32 3, v80
	s_cbranch_execz .LBB0_14
; %bb.13:
	v_mul_f64 v[124:125], v[62:63], s[26:27]
	v_mul_f64 v[126:127], v[60:61], s[26:27]
	;; [unrolled: 1-line block ×22, first 2 shown]
	v_fma_f64 v[140:141], v[58:59], s[20:21], v[124:125]
	v_fma_f64 v[124:125], v[58:59], s[20:21], -v[124:125]
	v_fma_f64 v[142:143], v[56:57], s[20:21], -v[126:127]
	v_fma_f64 v[126:127], v[56:57], s[20:21], v[126:127]
	v_fma_f64 v[174:175], v[46:47], s[4:5], v[130:131]
	v_fma_f64 v[130:131], v[46:47], s[4:5], -v[130:131]
	v_fma_f64 v[176:177], v[44:45], s[4:5], -v[134:135]
	v_fma_f64 v[188:189], v[58:59], s[6:7], v[128:129]
	v_fma_f64 v[196:197], v[56:57], s[6:7], -v[132:133]
	v_fma_f64 v[128:129], v[58:59], s[6:7], -v[128:129]
	v_fma_f64 v[132:133], v[56:57], s[6:7], v[132:133]
	v_fma_f64 v[198:199], v[58:59], s[24:25], v[150:151]
	;; [unrolled: 1-line block ×5, first 2 shown]
	v_fma_f64 v[204:205], v[36:37], s[6:7], -v[160:161]
	v_fma_f64 v[146:147], v[38:39], s[6:7], -v[146:147]
	;; [unrolled: 1-line block ×5, first 2 shown]
	v_fma_f64 v[160:161], v[36:37], s[6:7], v[160:161]
	v_mul_f64 v[182:183], v[42:43], s[40:41]
	v_add_f64 v[140:141], v[2:3], v[140:141]
	v_add_f64 v[124:125], v[2:3], v[124:125]
	;; [unrolled: 1-line block ×4, first 2 shown]
	v_mul_f64 v[192:193], v[40:41], s[36:37]
	v_mul_f64 v[194:195], v[42:43], s[36:37]
	v_fma_f64 v[208:209], v[30:31], s[10:11], v[144:145]
	v_fma_f64 v[210:211], v[28:29], s[10:11], -v[158:159]
	v_add_f64 v[196:197], v[0:1], v[196:197]
	v_add_f64 v[128:129], v[2:3], v[128:129]
	;; [unrolled: 1-line block ×4, first 2 shown]
	v_fma_f64 v[144:145], v[30:31], s[10:11], -v[144:145]
	v_fma_f64 v[158:159], v[28:29], s[10:11], v[158:159]
	v_mul_f64 v[164:165], v[32:33], s[18:19]
	v_mul_f64 v[190:191], v[32:33], s[40:41]
	v_fma_f64 v[170:171], v[44:45], s[6:7], v[170:171]
	v_add_f64 v[150:151], v[2:3], v[150:151]
	v_mul_f64 v[113:114], v[56:57], s[4:5]
	v_mul_f64 v[115:116], v[58:59], s[4:5]
	;; [unrolled: 1-line block ×4, first 2 shown]
	v_add_f64 v[140:141], v[174:175], v[140:141]
	v_add_f64 v[124:125], v[130:131], v[124:125]
	v_fma_f64 v[130:131], v[56:57], s[24:25], -v[156:157]
	v_add_f64 v[142:143], v[176:177], v[142:143]
	v_fma_f64 v[174:175], v[44:45], s[14:15], -v[162:163]
	v_fma_f64 v[162:163], v[44:45], s[14:15], v[162:163]
	v_add_f64 v[176:177], v[2:3], v[188:189]
	v_fma_f64 v[188:189], v[46:47], s[6:7], v[168:169]
	v_add_f64 v[126:127], v[134:135], v[126:127]
	v_fma_f64 v[168:169], v[46:47], s[6:7], -v[168:169]
	v_fma_f64 v[134:135], v[38:39], s[10:11], v[172:173]
	v_fma_f64 v[172:173], v[38:39], s[10:11], -v[172:173]
	v_fma_f64 v[156:157], v[56:57], s[24:25], v[156:157]
	v_add_f64 v[128:129], v[154:155], v[128:129]
	v_mul_f64 v[178:179], v[34:35], s[18:19]
	v_mul_f64 v[95:96], v[36:37], s[14:15]
	;; [unrolled: 1-line block ×4, first 2 shown]
	v_add_f64 v[78:79], v[113:114], -v[78:79]
	v_mul_f64 v[93:94], v[28:29], s[24:25]
	v_add_f64 v[64:65], v[103:104], -v[64:65]
	v_add_f64 v[68:69], v[68:69], v[107:108]
	v_add_f64 v[140:141], v[202:203], v[140:141]
	;; [unrolled: 1-line block ×4, first 2 shown]
	v_fma_f64 v[146:147], v[36:37], s[10:11], -v[180:181]
	v_fma_f64 v[180:181], v[36:37], s[10:11], v[180:181]
	v_fma_f64 v[202:203], v[38:39], s[4:5], v[184:185]
	v_add_f64 v[176:177], v[200:201], v[176:177]
	v_add_f64 v[174:175], v[174:175], v[196:197]
	;; [unrolled: 1-line block ×3, first 2 shown]
	v_fma_f64 v[160:161], v[36:37], s[4:5], -v[186:187]
	v_add_f64 v[132:133], v[162:163], v[132:133]
	v_add_f64 v[154:155], v[188:189], v[198:199]
	;; [unrolled: 1-line block ×3, first 2 shown]
	v_fma_f64 v[204:205], v[20:21], s[24:25], -v[152:153]
	v_fma_f64 v[184:185], v[38:39], s[4:5], -v[184:185]
	v_add_f64 v[150:151], v[168:169], v[150:151]
	v_fma_f64 v[168:169], v[28:29], s[20:21], -v[182:183]
	v_fma_f64 v[152:153], v[20:21], s[24:25], v[152:153]
	v_add_f64 v[156:157], v[0:1], v[156:157]
	v_add_f64 v[128:129], v[172:173], v[128:129]
	v_mul_f64 v[172:173], v[34:35], s[40:41]
	v_mul_f64 v[188:189], v[52:53], s[26:27]
	;; [unrolled: 1-line block ×3, first 2 shown]
	v_add_f64 v[124:125], v[144:145], v[124:125]
	v_add_f64 v[130:131], v[206:207], v[130:131]
	v_fma_f64 v[144:145], v[30:31], s[20:21], v[166:167]
	v_fma_f64 v[166:167], v[30:31], s[20:21], -v[166:167]
	v_mul_f64 v[111:112], v[30:31], s[24:25]
	v_add_f64 v[134:135], v[134:135], v[176:177]
	v_add_f64 v[146:147], v[146:147], v[174:175]
	v_fma_f64 v[174:175], v[28:29], s[20:21], v[182:183]
	v_add_f64 v[126:127], v[158:159], v[126:127]
	v_fma_f64 v[158:159], v[30:31], s[14:15], v[192:193]
	v_add_f64 v[132:133], v[180:181], v[132:133]
	v_add_f64 v[154:155], v[202:203], v[154:155]
	v_fma_f64 v[176:177], v[28:29], s[14:15], -v[194:195]
	v_mul_f64 v[180:181], v[26:27], s[30:31]
	v_add_f64 v[150:151], v[184:185], v[150:151]
	v_fma_f64 v[184:185], v[36:37], s[4:5], v[186:187]
	v_fma_f64 v[186:187], v[22:23], s[20:21], -v[190:191]
	v_add_f64 v[156:157], v[170:171], v[156:157]
	v_mul_f64 v[170:171], v[62:63], s[36:37]
	v_mul_f64 v[62:63], v[62:63], s[16:17]
	v_fma_f64 v[113:114], v[20:21], s[20:21], v[172:173]
	v_fma_f64 v[182:183], v[20:21], s[4:5], -v[178:179]
	v_fma_f64 v[200:201], v[22:23], s[24:25], v[138:139]
	v_add_f64 v[130:131], v[160:161], v[130:131]
	v_fma_f64 v[160:161], v[22:23], s[4:5], v[164:165]
	v_add_f64 v[128:129], v[166:167], v[128:129]
	v_fma_f64 v[138:139], v[22:23], s[24:25], -v[138:139]
	v_add_f64 v[134:135], v[144:145], v[134:135]
	v_fma_f64 v[144:145], v[30:31], s[14:15], -v[192:193]
	v_add_f64 v[146:147], v[168:169], v[146:147]
	v_add_f64 v[126:127], v[152:153], v[126:127]
	v_fma_f64 v[152:153], v[22:23], s[4:5], -v[164:165]
	v_add_f64 v[132:133], v[174:175], v[132:133]
	v_fma_f64 v[168:169], v[22:23], s[20:21], v[190:191]
	v_add_f64 v[154:155], v[158:159], v[154:155]
	v_fma_f64 v[174:175], v[20:21], s[20:21], -v[172:173]
	v_mul_f64 v[99:100], v[20:21], s[6:7]
	v_mul_f64 v[101:102], v[22:23], s[6:7]
	;; [unrolled: 1-line block ×3, first 2 shown]
	v_add_f64 v[156:157], v[184:185], v[156:157]
	v_mul_f64 v[148:149], v[26:27], s[22:23]
	v_mul_f64 v[166:167], v[24:25], s[38:39]
	;; [unrolled: 1-line block ×3, first 2 shown]
	v_fma_f64 v[164:165], v[20:21], s[4:5], v[178:179]
	v_add_f64 v[140:141], v[208:209], v[140:141]
	v_add_f64 v[130:131], v[176:177], v[130:131]
	v_mul_f64 v[176:177], v[60:61], s[36:37]
	v_mul_f64 v[60:61], v[60:61], s[16:17]
	v_add_f64 v[124:125], v[138:139], v[124:125]
	v_add_f64 v[134:135], v[160:161], v[134:135]
	;; [unrolled: 1-line block ×3, first 2 shown]
	v_fma_f64 v[150:151], v[16:17], s[24:25], -v[180:181]
	v_fma_f64 v[160:161], v[28:29], s[14:15], v[194:195]
	v_add_f64 v[128:129], v[152:153], v[128:129]
	v_fma_f64 v[152:153], v[16:17], s[24:25], v[180:181]
	v_fma_f64 v[180:181], v[58:59], s[14:15], v[170:171]
	v_add_f64 v[154:155], v[168:169], v[154:155]
	v_mul_f64 v[168:169], v[54:55], s[26:27]
	v_fma_f64 v[170:171], v[58:59], s[14:15], -v[170:171]
	v_mul_f64 v[54:55], v[54:55], s[30:31]
	v_add_f64 v[146:147], v[182:183], v[146:147]
	v_mul_f64 v[182:183], v[32:33], s[16:17]
	v_mul_f64 v[32:33], v[32:33], s[22:23]
	;; [unrolled: 1-line block ×3, first 2 shown]
	v_add_f64 v[142:143], v[210:211], v[142:143]
	v_mul_f64 v[105:106], v[16:17], s[20:21]
	v_mul_f64 v[109:110], v[18:19], s[20:21]
	v_add_f64 v[130:131], v[174:175], v[130:131]
	v_fma_f64 v[190:191], v[56:57], s[14:15], -v[176:177]
	v_fma_f64 v[174:175], v[56:57], s[14:15], v[176:177]
	v_fma_f64 v[176:177], v[58:59], s[10:11], -v[62:63]
	v_fma_f64 v[58:59], v[58:59], s[10:11], v[62:63]
	v_fma_f64 v[62:63], v[56:57], s[10:11], v[60:61]
	v_fma_f64 v[56:57], v[56:57], s[10:11], -v[60:61]
	v_add_f64 v[60:61], v[91:92], v[115:116]
	v_add_f64 v[91:92], v[186:187], v[144:145]
	v_add_f64 v[115:116], v[160:161], v[156:157]
	v_mul_f64 v[156:157], v[50:51], s[34:35]
	v_add_f64 v[172:173], v[2:3], v[180:181]
	v_fma_f64 v[160:161], v[46:47], s[20:21], v[168:169]
	v_mul_f64 v[180:181], v[48:49], s[34:35]
	v_fma_f64 v[186:187], v[44:45], s[20:21], -v[188:189]
	v_fma_f64 v[168:169], v[46:47], s[20:21], -v[168:169]
	v_add_f64 v[170:171], v[2:3], v[170:171]
	v_mul_f64 v[50:51], v[50:51], s[26:27]
	v_mul_f64 v[48:49], v[48:49], s[26:27]
	v_fma_f64 v[188:189], v[44:45], s[20:21], v[188:189]
	v_mul_f64 v[144:145], v[40:41], s[18:19]
	v_mul_f64 v[40:41], v[40:41], s[28:29]
	v_add_f64 v[132:133], v[164:165], v[132:133]
	v_add_f64 v[190:191], v[0:1], v[190:191]
	;; [unrolled: 1-line block ×9, first 2 shown]
	v_fma_f64 v[60:61], v[46:47], s[24:25], -v[54:55]
	v_fma_f64 v[78:79], v[44:45], s[24:25], v[52:53]
	v_fma_f64 v[46:47], v[46:47], s[24:25], v[54:55]
	v_fma_f64 v[44:45], v[44:45], s[24:25], -v[52:53]
	v_fma_f64 v[103:104], v[38:39], s[24:25], v[156:157]
	v_add_f64 v[160:161], v[160:161], v[172:173]
	v_mul_f64 v[172:173], v[42:43], s[18:19]
	v_fma_f64 v[156:157], v[38:39], s[24:25], -v[156:157]
	v_add_f64 v[168:169], v[168:169], v[170:171]
	v_fma_f64 v[170:171], v[36:37], s[24:25], v[180:181]
	v_mul_f64 v[42:43], v[42:43], s[28:29]
	v_fma_f64 v[107:108], v[30:31], s[4:5], v[144:145]
	v_mul_f64 v[54:55], v[24:25], s[12:13]
	v_mul_f64 v[24:25], v[24:25], s[18:19]
	v_add_f64 v[186:187], v[186:187], v[190:191]
	v_fma_f64 v[190:191], v[36:37], s[24:25], -v[180:181]
	v_fma_f64 v[180:181], v[38:39], s[20:21], -v[50:51]
	v_fma_f64 v[38:39], v[38:39], s[20:21], v[50:51]
	v_add_f64 v[50:51], v[95:96], -v[66:67]
	v_fma_f64 v[52:53], v[22:23], s[10:11], v[182:183]
	v_add_f64 v[2:3], v[68:69], v[2:3]
	v_add_f64 v[0:1], v[64:65], v[0:1]
	v_add_f64 v[60:61], v[60:61], v[176:177]
	v_fma_f64 v[176:177], v[36:37], s[20:21], v[48:49]
	v_add_f64 v[62:63], v[78:79], v[62:63]
	v_add_f64 v[78:79], v[188:189], v[174:175]
	;; [unrolled: 1-line block ×3, first 2 shown]
	v_fma_f64 v[36:37], v[36:37], s[20:21], -v[48:49]
	v_add_f64 v[44:45], v[44:45], v[56:57]
	v_add_f64 v[48:49], v[70:71], v[97:98]
	;; [unrolled: 1-line block ×3, first 2 shown]
	v_mul_f64 v[58:59], v[34:35], s[16:17]
	v_fma_f64 v[64:65], v[28:29], s[4:5], -v[172:173]
	v_fma_f64 v[68:69], v[30:31], s[4:5], -v[144:145]
	v_add_f64 v[70:71], v[156:157], v[168:169]
	v_mul_f64 v[34:35], v[34:35], s[22:23]
	v_fma_f64 v[97:98], v[30:31], s[6:7], -v[40:41]
	v_add_f64 v[66:67], v[190:191], v[186:187]
	v_fma_f64 v[103:104], v[28:29], s[6:7], v[42:43]
	v_fma_f64 v[95:96], v[28:29], s[4:5], v[172:173]
	;; [unrolled: 1-line block ×3, first 2 shown]
	v_fma_f64 v[28:29], v[28:29], s[6:7], -v[42:43]
	v_add_f64 v[40:41], v[74:75], v[111:112]
	v_add_f64 v[42:43], v[93:94], -v[72:73]
	v_add_f64 v[60:61], v[180:181], v[60:61]
	v_add_f64 v[0:1], v[50:51], v[0:1]
	;; [unrolled: 1-line block ×5, first 2 shown]
	v_mul_f64 v[46:47], v[26:27], s[12:13]
	v_add_f64 v[36:37], v[36:37], v[44:45]
	v_add_f64 v[2:3], v[48:49], v[2:3]
	v_mul_f64 v[26:27], v[26:27], s[18:19]
	v_fma_f64 v[48:49], v[20:21], s[10:11], -v[58:59]
	v_add_f64 v[44:45], v[107:108], v[56:57]
	v_fma_f64 v[56:57], v[22:23], s[10:11], -v[182:183]
	v_fma_f64 v[58:59], v[20:21], s[10:11], v[58:59]
	v_fma_f64 v[164:165], v[18:19], s[10:11], v[166:167]
	v_fma_f64 v[166:167], v[18:19], s[10:11], -v[166:167]
	v_add_f64 v[50:51], v[64:65], v[66:67]
	v_add_f64 v[64:65], v[68:69], v[70:71]
	v_fma_f64 v[66:67], v[22:23], s[14:15], -v[32:33]
	v_fma_f64 v[68:69], v[20:21], s[14:15], v[34:35]
	v_fma_f64 v[22:23], v[22:23], s[14:15], v[32:33]
	v_fma_f64 v[20:21], v[20:21], s[14:15], -v[34:35]
	v_add_f64 v[32:33], v[85:86], v[101:102]
	v_add_f64 v[60:61], v[97:98], v[60:61]
	v_add_f64 v[34:35], v[99:100], -v[76:77]
	v_add_f64 v[62:63], v[103:104], v[62:63]
	v_add_f64 v[70:71], v[95:96], v[78:79]
	v_add_f64 v[30:31], v[30:31], v[38:39]
	v_add_f64 v[0:1], v[42:43], v[0:1]
	v_add_f64 v[28:29], v[28:29], v[36:37]
	v_add_f64 v[2:3], v[40:41], v[2:3]
	v_fma_f64 v[76:77], v[18:19], s[6:7], v[54:55]
	v_fma_f64 v[36:37], v[18:19], s[6:7], -v[54:55]
	v_fma_f64 v[40:41], v[18:19], s[4:5], -v[24:25]
	v_add_f64 v[44:45], v[52:53], v[44:45]
	v_fma_f64 v[52:53], v[16:17], s[6:7], -v[46:47]
	v_fma_f64 v[46:47], v[16:17], s[6:7], v[46:47]
	v_fma_f64 v[72:73], v[16:17], s[10:11], v[158:159]
	v_add_f64 v[48:49], v[48:49], v[50:51]
	v_fma_f64 v[50:51], v[16:17], s[4:5], v[26:27]
	v_add_f64 v[38:39], v[56:57], v[64:65]
	v_add_f64 v[74:75], v[113:114], v[115:116]
	v_fma_f64 v[178:179], v[18:19], s[24:25], v[138:139]
	v_fma_f64 v[138:139], v[18:19], s[24:25], -v[138:139]
	v_fma_f64 v[196:197], v[18:19], s[14:15], v[136:137]
	v_add_f64 v[42:43], v[66:67], v[60:61]
	v_fma_f64 v[162:163], v[16:17], s[14:15], -v[148:149]
	v_add_f64 v[54:55], v[68:69], v[62:63]
	v_add_f64 v[56:57], v[58:59], v[70:71]
	v_fma_f64 v[136:137], v[18:19], s[14:15], -v[136:137]
	v_fma_f64 v[148:149], v[16:17], s[14:15], v[148:149]
	v_add_f64 v[140:141], v[200:201], v[140:141]
	v_add_f64 v[142:143], v[204:205], v[142:143]
	v_fma_f64 v[184:185], v[16:17], s[10:11], -v[158:159]
	v_fma_f64 v[58:59], v[18:19], s[4:5], v[24:25]
	v_add_f64 v[60:61], v[22:23], v[30:31]
	v_fma_f64 v[62:63], v[16:17], s[4:5], -v[26:27]
	v_add_f64 v[64:65], v[20:21], v[28:29]
	v_add_f64 v[66:67], v[89:90], v[109:110]
	;; [unrolled: 1-line block ×3, first 2 shown]
	v_add_f64 v[70:71], v[105:106], -v[87:88]
	v_add_f64 v[78:79], v[34:35], v[0:1]
	v_add_f64 v[38:39], v[36:37], v[38:39]
	;; [unrolled: 1-line block ×23, first 2 shown]
	v_mul_i32_i24_e32 v56, 0xd0, v84
	v_add3_u32 v56, 0, v56, v123
	ds_write_b128 v56, v[4:7]
	ds_write_b128 v56, v[12:15] offset:16
	ds_write_b128 v56, v[40:43] offset:32
	;; [unrolled: 1-line block ×12, first 2 shown]
.LBB0_14:
	s_or_b32 exec_lo, exec_lo, s1
	v_lshlrev_b32_e32 v0, 4, v84
	s_waitcnt lgkmcnt(0)
	s_barrier
	buffer_gl0_inv
	v_cmp_gt_u32_e64 s0, 26, v80
	v_add3_u32 v90, 0, v0, v123
	ds_read_b128 v[20:23], v117
	ds_read_b128 v[0:3], v121 offset:1248
	ds_read_b128 v[40:43], v121 offset:3536
	;; [unrolled: 1-line block ×9, first 2 shown]
	ds_read_b128 v[24:27], v90
	ds_read_b128 v[44:47], v121 offset:7696
	s_and_saveexec_b32 s1, s0
	s_cbranch_execz .LBB0_16
; %bb.15:
	ds_read_b128 v[8:11], v121 offset:2496
	ds_read_b128 v[4:7], v121 offset:5408
	;; [unrolled: 1-line block ×3, first 2 shown]
.LBB0_16:
	s_or_b32 exec_lo, exec_lo, s1
	v_and_b32_e32 v60, 0xff, v80
	v_add_nc_u16 v61, v80, 0x4e
	v_and_b32_e32 v62, 0xff, v84
	v_add_nc_u16 v69, v80, 0x75
	s_mov_b32 s4, 0xe8584caa
	v_mul_lo_u16 v60, 0x4f, v60
	v_and_b32_e32 v63, 0xff, v61
	v_mul_lo_u16 v62, 0x4f, v62
	v_and_b32_e32 v64, 0xff, v69
	s_mov_b32 s5, 0xbfebb67a
	v_lshrrev_b16 v79, 10, v60
	v_mul_lo_u16 v63, 0x4f, v63
	v_lshrrev_b16 v81, 10, v62
	v_mul_lo_u16 v64, 0x4f, v64
	v_mov_b32_e32 v60, 5
	v_mul_lo_u16 v62, v79, 13
	v_lshrrev_b16 v89, 10, v63
	v_mul_lo_u16 v63, v81, 13
	v_lshrrev_b16 v125, 10, v64
	s_mov_b32 s7, 0x3febb67a
	v_sub_nc_u16 v124, v80, v62
	v_mul_lo_u16 v62, v89, 13
	v_sub_nc_u16 v126, v84, v63
	v_mul_lo_u16 v70, v125, 13
	s_mov_b32 s6, s4
	v_lshlrev_b32_sdwa v65, v60, v124 dst_sel:DWORD dst_unused:UNUSED_PAD src0_sel:DWORD src1_sel:BYTE_0
	v_sub_nc_u16 v127, v61, v62
	v_lshlrev_b32_sdwa v73, v60, v126 dst_sel:DWORD dst_unused:UNUSED_PAD src0_sel:DWORD src1_sel:BYTE_0
	v_sub_nc_u16 v128, v69, v70
	v_and_b32_e32 v79, 0xffff, v79
	s_clause 0x1
	global_load_dwordx4 v[61:64], v65, s[8:9]
	global_load_dwordx4 v[65:68], v65, s[8:9] offset:16
	v_lshlrev_b32_sdwa v77, v60, v127 dst_sel:DWORD dst_unused:UNUSED_PAD src0_sel:DWORD src1_sel:BYTE_0
	s_clause 0x1
	global_load_dwordx4 v[69:72], v73, s[8:9]
	global_load_dwordx4 v[73:76], v73, s[8:9] offset:16
	v_lshlrev_b32_sdwa v78, v60, v128 dst_sel:DWORD dst_unused:UNUSED_PAD src0_sel:DWORD src1_sel:BYTE_0
	v_mad_u32_u24 v79, 0x270, v79, 0
	s_clause 0x3
	global_load_dwordx4 v[85:88], v77, s[8:9]
	global_load_dwordx4 v[91:94], v77, s[8:9] offset:16
	global_load_dwordx4 v[95:98], v78, s[8:9]
	global_load_dwordx4 v[99:102], v78, s[8:9] offset:16
	s_waitcnt vmcnt(0) lgkmcnt(0)
	s_barrier
	buffer_gl0_inv
	v_mul_f64 v[77:78], v[54:55], v[63:64]
	v_mul_f64 v[103:104], v[58:59], v[67:68]
	;; [unrolled: 1-line block ×16, first 2 shown]
	v_fma_f64 v[52:53], v[52:53], v[61:62], v[77:78]
	v_fma_f64 v[56:57], v[56:57], v[65:66], v[103:104]
	v_fma_f64 v[54:55], v[54:55], v[61:62], -v[63:64]
	v_fma_f64 v[58:59], v[58:59], v[65:66], -v[67:68]
	v_fma_f64 v[40:41], v[40:41], v[69:70], v[105:106]
	v_fma_f64 v[48:49], v[48:49], v[73:74], v[107:108]
	v_fma_f64 v[42:43], v[42:43], v[69:70], -v[71:72]
	v_fma_f64 v[50:51], v[50:51], v[73:74], -v[75:76]
	;; [unrolled: 4-line block ×4, first 2 shown]
	v_and_b32_e32 v31, 0xffff, v81
	v_mov_b32_e32 v28, 4
	v_mad_u32_u24 v81, 0x270, v31, 0
	v_add_f64 v[73:74], v[20:21], v[52:53]
	v_add_f64 v[63:64], v[52:53], v[56:57]
	v_add_f64 v[52:53], v[52:53], -v[56:57]
	v_add_f64 v[65:66], v[54:55], v[58:59]
	v_add_f64 v[77:78], v[54:55], -v[58:59]
	v_add_f64 v[67:68], v[40:41], v[48:49]
	v_add_f64 v[54:55], v[22:23], v[54:55]
	;; [unrolled: 1-line block ×11, first 2 shown]
	v_add_f64 v[42:43], v[42:43], -v[50:51]
	v_add_f64 v[103:104], v[40:41], -v[48:49]
	v_add_f64 v[99:100], v[16:17], v[36:37]
	v_add_f64 v[101:102], v[18:19], v[38:39]
	v_add_f64 v[61:62], v[61:62], -v[32:33]
	v_add_f64 v[105:106], v[38:39], -v[46:47]
	;; [unrolled: 1-line block ×3, first 2 shown]
	v_fma_f64 v[63:64], v[63:64], -0.5, v[20:21]
	v_and_b32_e32 v31, 0xffff, v89
	v_fma_f64 v[65:66], v[65:66], -0.5, v[22:23]
	v_and_b32_e32 v89, 0xffff, v125
	v_fma_f64 v[40:41], v[67:68], -0.5, v[24:25]
	v_add_f64 v[67:68], v[29:30], -v[34:35]
	v_fma_f64 v[69:70], v[69:70], -0.5, v[26:27]
	v_mad_u32_u24 v111, 0x270, v31, 0
	v_fma_f64 v[71:72], v[71:72], -0.5, v[0:1]
	v_add_f64 v[0:1], v[73:74], v[56:57]
	v_fma_f64 v[75:76], v[75:76], -0.5, v[2:3]
	v_add_f64 v[2:3], v[54:55], v[58:59]
	;; [unrolled: 2-line block ×4, first 2 shown]
	v_add_f64 v[16:17], v[91:92], v[48:49]
	v_add_f64 v[18:19], v[93:94], v[50:51]
	;; [unrolled: 1-line block ×4, first 2 shown]
	v_lshlrev_b32_sdwa v109, v28, v124 dst_sel:DWORD dst_unused:UNUSED_PAD src0_sel:DWORD src1_sel:BYTE_0
	v_lshlrev_b32_sdwa v110, v28, v126 dst_sel:DWORD dst_unused:UNUSED_PAD src0_sel:DWORD src1_sel:BYTE_0
	v_fma_f64 v[29:30], v[77:78], s[4:5], v[63:64]
	v_fma_f64 v[33:34], v[77:78], s[6:7], v[63:64]
	;; [unrolled: 1-line block ×16, first 2 shown]
	v_mad_u32_u24 v57, 0x270, v89, 0
	v_add3_u32 v58, v79, v109, v123
	v_lshlrev_b32_sdwa v65, v28, v127 dst_sel:DWORD dst_unused:UNUSED_PAD src0_sel:DWORD src1_sel:BYTE_0
	v_lshlrev_b32_sdwa v66, v28, v128 dst_sel:DWORD dst_unused:UNUSED_PAD src0_sel:DWORD src1_sel:BYTE_0
	v_add3_u32 v59, v81, v110, v123
	v_add3_u32 v65, v111, v65, v123
	;; [unrolled: 1-line block ×3, first 2 shown]
	ds_write_b128 v58, v[0:3]
	ds_write_b128 v58, v[29:32] offset:208
	ds_write_b128 v58, v[33:36] offset:416
	ds_write_b128 v59, v[16:19]
	ds_write_b128 v59, v[37:40] offset:208
	ds_write_b128 v59, v[41:44] offset:416
	;; [unrolled: 3-line block ×4, first 2 shown]
	s_and_saveexec_b32 s1, s0
	s_cbranch_execz .LBB0_18
; %bb.17:
	v_add_nc_u16 v0, v80, 0x9c
	v_and_b32_e32 v1, 0xff, v0
	v_mul_lo_u16 v1, 0x4f, v1
	v_lshrrev_b16 v24, 10, v1
	v_mul_lo_u16 v1, v24, 13
	v_sub_nc_u16 v25, v0, v1
	v_lshlrev_b32_sdwa v16, v60, v25 dst_sel:DWORD dst_unused:UNUSED_PAD src0_sel:DWORD src1_sel:BYTE_0
	s_clause 0x1
	global_load_dwordx4 v[0:3], v16, s[8:9]
	global_load_dwordx4 v[16:19], v16, s[8:9] offset:16
	s_waitcnt vmcnt(1)
	v_mul_f64 v[20:21], v[4:5], v[2:3]
	s_waitcnt vmcnt(0)
	v_mul_f64 v[22:23], v[12:13], v[18:19]
	v_mul_f64 v[2:3], v[6:7], v[2:3]
	;; [unrolled: 1-line block ×3, first 2 shown]
	v_fma_f64 v[6:7], v[6:7], v[0:1], -v[20:21]
	v_fma_f64 v[14:15], v[14:15], v[16:17], -v[22:23]
	v_fma_f64 v[0:1], v[4:5], v[0:1], v[2:3]
	v_fma_f64 v[4:5], v[12:13], v[16:17], v[18:19]
	v_add_f64 v[18:19], v[10:11], v[6:7]
	v_add_f64 v[2:3], v[6:7], v[14:15]
	v_add_f64 v[20:21], v[6:7], -v[14:15]
	v_add_f64 v[12:13], v[0:1], v[4:5]
	v_add_f64 v[16:17], v[0:1], -v[4:5]
	v_add_f64 v[0:1], v[8:9], v[0:1]
	v_fma_f64 v[10:11], v[2:3], -0.5, v[10:11]
	v_add_f64 v[2:3], v[18:19], v[14:15]
	v_fma_f64 v[12:13], v[12:13], -0.5, v[8:9]
	v_add_f64 v[0:1], v[0:1], v[4:5]
	v_fma_f64 v[6:7], v[16:17], s[4:5], v[10:11]
	v_fma_f64 v[10:11], v[16:17], s[6:7], v[10:11]
	v_fma_f64 v[8:9], v[20:21], s[4:5], v[12:13]
	v_fma_f64 v[4:5], v[20:21], s[6:7], v[12:13]
	v_and_b32_e32 v12, 0xffff, v24
	v_lshlrev_b32_sdwa v13, v28, v25 dst_sel:DWORD dst_unused:UNUSED_PAD src0_sel:DWORD src1_sel:BYTE_0
	v_mad_u32_u24 v12, 0x270, v12, 0
	v_add3_u32 v12, v12, v13, v123
	ds_write_b128 v12, v[0:3]
	ds_write_b128 v12, v[8:11] offset:208
	ds_write_b128 v12, v[4:7] offset:416
.LBB0_18:
	s_or_b32 exec_lo, exec_lo, s1
	v_mul_u32_u24_e32 v0, 6, v80
	s_waitcnt lgkmcnt(0)
	s_barrier
	buffer_gl0_inv
	s_mov_b32 s12, 0x37e14327
	v_lshlrev_b32_e32 v0, 4, v0
	s_mov_b32 s4, 0x36b3c0b5
	s_mov_b32 s16, 0xe976ee23
	;; [unrolled: 1-line block ×4, first 2 shown]
	s_clause 0x5
	global_load_dwordx4 v[20:23], v0, s[8:9] offset:416
	global_load_dwordx4 v[16:19], v0, s[8:9] offset:432
	;; [unrolled: 1-line block ×6, first 2 shown]
	ds_read_b128 v[0:3], v117
	ds_read_b128 v[72:75], v121 offset:1248
	ds_read_b128 v[60:63], v121 offset:2496
	;; [unrolled: 1-line block ×11, first 2 shown]
	ds_read_b128 v[4:7], v90
	ds_read_b128 v[56:59], v121 offset:8112
	s_mov_b32 s17, 0x3fe11646
	s_mov_b32 s6, 0x429ad128
	;; [unrolled: 1-line block ×15, first 2 shown]
	v_mov_b32_e32 v81, 0
	s_waitcnt vmcnt(0) lgkmcnt(0)
	s_barrier
	buffer_gl0_inv
	s_add_u32 s1, s8, 0x2150
	v_mov_b32_e32 v85, v81
	v_lshlrev_b64 v[86:87], 4, v[80:81]
	v_lshlrev_b64 v[88:89], 4, v[84:85]
	v_add_co_u32 v81, s0, s8, v86
	v_add_co_ci_u32_e64 v85, s0, s9, v87, s0
	v_mul_f64 v[91:92], v[74:75], v[22:23]
	v_mul_f64 v[93:94], v[72:73], v[22:23]
	;; [unrolled: 1-line block ×24, first 2 shown]
	v_fma_f64 v[72:73], v[72:73], v[20:21], v[91:92]
	v_fma_f64 v[74:75], v[74:75], v[20:21], -v[93:94]
	v_fma_f64 v[60:61], v[60:61], v[16:17], v[95:96]
	v_fma_f64 v[62:63], v[62:63], v[16:17], -v[97:98]
	;; [unrolled: 2-line block ×12, first 2 shown]
	v_add_f64 v[10:11], v[72:73], v[76:77]
	v_add_f64 v[32:33], v[74:75], v[78:79]
	;; [unrolled: 1-line block ×4, first 2 shown]
	v_add_f64 v[48:49], v[60:61], -v[68:69]
	v_add_f64 v[50:51], v[62:63], -v[70:71]
	v_add_f64 v[56:57], v[44:45], v[22:23]
	v_add_f64 v[58:59], v[20:21], v[24:25]
	v_add_f64 v[22:23], v[44:45], -v[22:23]
	v_add_f64 v[20:21], v[20:21], -v[24:25]
	v_add_f64 v[24:25], v[26:27], v[18:19]
	v_add_f64 v[44:45], v[16:17], v[28:29]
	;; [unrolled: 4-line block ×4, first 2 shown]
	v_add_f64 v[14:15], v[14:15], -v[30:31]
	v_add_f64 v[8:9], v[8:9], -v[12:13]
	;; [unrolled: 1-line block ×4, first 2 shown]
	v_add_f64 v[12:13], v[34:35], v[10:11]
	v_add_f64 v[30:31], v[36:37], v[32:33]
	v_add_f64 v[60:61], v[34:35], -v[10:11]
	v_add_f64 v[62:63], v[36:37], -v[32:33]
	v_add_f64 v[72:73], v[24:25], v[56:57]
	v_add_f64 v[74:75], v[44:45], v[58:59]
	v_add_f64 v[76:77], v[24:25], -v[56:57]
	v_add_f64 v[78:79], v[44:45], -v[58:59]
	;; [unrolled: 1-line block ×6, first 2 shown]
	v_add_f64 v[64:65], v[52:53], v[48:49]
	v_add_f64 v[66:67], v[54:55], v[50:51]
	v_add_f64 v[68:69], v[52:53], -v[48:49]
	v_add_f64 v[70:71], v[54:55], -v[50:51]
	;; [unrolled: 1-line block ×4, first 2 shown]
	v_add_f64 v[12:13], v[42:43], v[12:13]
	v_add_f64 v[30:31], v[46:47], v[30:31]
	v_add_f64 v[56:57], v[56:57], -v[26:27]
	v_add_f64 v[58:59], v[58:59], -v[28:29]
	;; [unrolled: 1-line block ×4, first 2 shown]
	v_add_f64 v[91:92], v[14:15], v[18:19]
	v_add_f64 v[93:94], v[8:9], v[16:17]
	v_add_f64 v[95:96], v[14:15], -v[18:19]
	v_add_f64 v[97:98], v[8:9], -v[16:17]
	v_add_f64 v[26:27], v[26:27], v[72:73]
	v_add_f64 v[28:29], v[28:29], v[74:75]
	v_add_f64 v[18:19], v[18:19], -v[22:23]
	v_add_f64 v[16:17], v[16:17], -v[20:21]
	;; [unrolled: 1-line block ×4, first 2 shown]
	v_add_f64 v[38:39], v[64:65], v[38:39]
	v_add_f64 v[40:41], v[66:67], v[40:41]
	v_mul_f64 v[10:11], v[10:11], s[12:13]
	v_mul_f64 v[32:33], v[32:33], s[12:13]
	;; [unrolled: 1-line block ×6, first 2 shown]
	v_add_f64 v[0:1], v[0:1], v[12:13]
	v_add_f64 v[2:3], v[2:3], v[30:31]
	v_mul_f64 v[68:69], v[48:49], s[6:7]
	v_mul_f64 v[70:71], v[50:51], s[6:7]
	v_add_f64 v[14:15], v[22:23], -v[14:15]
	v_add_f64 v[8:9], v[20:21], -v[8:9]
	v_add_f64 v[22:23], v[91:92], v[22:23]
	v_add_f64 v[20:21], v[93:94], v[20:21]
	v_mul_f64 v[56:57], v[56:57], s[12:13]
	v_mul_f64 v[58:59], v[58:59], s[12:13]
	v_mul_f64 v[91:92], v[95:96], s[16:17]
	v_mul_f64 v[93:94], v[97:98], s[16:17]
	v_add_f64 v[4:5], v[4:5], v[26:27]
	v_add_f64 v[6:7], v[6:7], v[28:29]
	v_mul_f64 v[95:96], v[18:19], s[6:7]
	v_mul_f64 v[97:98], v[16:17], s[6:7]
	;; [unrolled: 1-line block ×4, first 2 shown]
	v_fma_f64 v[34:35], v[34:35], s[4:5], v[10:11]
	v_fma_f64 v[36:37], v[36:37], s[4:5], v[32:33]
	v_fma_f64 v[42:43], v[60:61], s[18:19], -v[42:43]
	v_fma_f64 v[46:47], v[62:63], s[18:19], -v[46:47]
	;; [unrolled: 1-line block ×4, first 2 shown]
	v_fma_f64 v[60:61], v[52:53], s[20:21], v[64:65]
	v_fma_f64 v[62:63], v[54:55], s[20:21], v[66:67]
	;; [unrolled: 1-line block ×4, first 2 shown]
	v_fma_f64 v[48:49], v[48:49], s[6:7], -v[64:65]
	v_fma_f64 v[50:51], v[50:51], s[6:7], -v[66:67]
	;; [unrolled: 1-line block ×4, first 2 shown]
	v_fma_f64 v[24:25], v[24:25], s[4:5], v[56:57]
	v_fma_f64 v[44:45], v[44:45], s[4:5], v[58:59]
	;; [unrolled: 1-line block ×6, first 2 shown]
	v_fma_f64 v[14:15], v[14:15], s[22:23], -v[95:96]
	v_fma_f64 v[8:9], v[8:9], s[22:23], -v[97:98]
	;; [unrolled: 1-line block ×8, first 2 shown]
	v_fma_f64 v[60:61], v[38:39], s[24:25], v[60:61]
	v_fma_f64 v[62:63], v[40:41], s[24:25], v[62:63]
	v_add_f64 v[34:35], v[34:35], v[12:13]
	v_add_f64 v[36:37], v[36:37], v[30:31]
	v_fma_f64 v[48:49], v[38:39], s[24:25], v[48:49]
	v_fma_f64 v[50:51], v[40:41], s[24:25], v[50:51]
	;; [unrolled: 1-line block ×4, first 2 shown]
	v_add_f64 v[52:53], v[10:11], v[12:13]
	v_add_f64 v[32:33], v[32:33], v[30:31]
	;; [unrolled: 1-line block ×4, first 2 shown]
	v_fma_f64 v[54:55], v[22:23], s[24:25], v[68:69]
	v_fma_f64 v[68:69], v[20:21], s[24:25], v[70:71]
	v_add_f64 v[76:77], v[24:25], v[26:27]
	v_add_f64 v[78:79], v[44:45], v[28:29]
	v_fma_f64 v[72:73], v[22:23], s[24:25], v[14:15]
	v_fma_f64 v[74:75], v[20:21], s[24:25], v[8:9]
	v_add_f64 v[56:57], v[56:57], v[26:27]
	v_add_f64 v[58:59], v[58:59], v[28:29]
	;; [unrolled: 4-line block ×3, first 2 shown]
	v_add_f64 v[8:9], v[62:63], v[34:35]
	v_add_f64 v[10:11], v[36:37], -v[60:61]
	v_add_f64 v[28:29], v[34:35], -v[62:63]
	v_add_co_u32 v66, s0, s8, v88
	v_add_co_ci_u32_e64 v67, s0, s9, v89, s0
	v_add_f64 v[12:13], v[40:41], v[52:53]
	v_add_f64 v[14:15], v[32:33], -v[38:39]
	v_add_f64 v[16:17], v[42:43], -v[50:51]
	v_add_f64 v[18:19], v[48:49], v[30:31]
	v_add_f64 v[20:21], v[50:51], v[42:43]
	v_add_f64 v[22:23], v[30:31], -v[48:49]
	v_add_f64 v[24:25], v[52:53], -v[40:41]
	v_add_f64 v[26:27], v[38:39], v[32:33]
	v_add_f64 v[30:31], v[60:61], v[36:37]
	;; [unrolled: 1-line block ×3, first 2 shown]
	v_add_f64 v[34:35], v[78:79], -v[54:55]
	v_add_f64 v[36:37], v[74:75], v[56:57]
	v_add_f64 v[38:39], v[58:59], -v[72:73]
	v_add_f64 v[40:41], v[44:45], -v[70:71]
	v_add_f64 v[42:43], v[46:47], v[64:65]
	v_add_f64 v[44:45], v[70:71], v[44:45]
	v_add_f64 v[46:47], v[64:65], -v[46:47]
	v_add_f64 v[48:49], v[56:57], -v[74:75]
	v_add_f64 v[50:51], v[72:73], v[58:59]
	v_add_f64 v[52:53], v[76:77], -v[68:69]
	v_add_f64 v[54:55], v[54:55], v[78:79]
	v_add_co_u32 v56, s0, 0x1000, v81
	v_add_co_ci_u32_e64 v57, s0, 0, v85, s0
	v_add_co_u32 v58, s0, 0x1000, v66
	v_add_co_ci_u32_e64 v59, s0, 0, v67, s0
	ds_write_b128 v121, v[0:3]
	ds_write_b128 v121, v[4:7] offset:4368
	ds_write_b128 v121, v[8:11] offset:624
	;; [unrolled: 1-line block ×13, first 2 shown]
	s_waitcnt lgkmcnt(0)
	s_barrier
	buffer_gl0_inv
	s_clause 0x1
	global_load_dwordx4 v[0:3], v[56:57], off offset:64
	global_load_dwordx4 v[4:7], v[58:59], off offset:64
	v_add_co_u32 v24, s0, 0x1800, v81
	v_add_co_ci_u32_e64 v25, s0, 0, v85, s0
	s_clause 0x4
	global_load_dwordx4 v[8:11], v[56:57], off offset:1312
	global_load_dwordx4 v[12:15], v[56:57], off offset:1936
	;; [unrolled: 1-line block ×5, first 2 shown]
	ds_read_b128 v[28:31], v121 offset:4368
	ds_read_b128 v[32:35], v121 offset:4992
	;; [unrolled: 1-line block ×7, first 2 shown]
	ds_read_b128 v[56:59], v90
	ds_read_b128 v[60:63], v117
	ds_read_b128 v[64:67], v121 offset:1248
	ds_read_b128 v[68:71], v121 offset:1872
	;; [unrolled: 1-line block ×3, first 2 shown]
	s_addc_u32 s4, s9, 0
	s_mov_b32 s5, exec_lo
	s_waitcnt vmcnt(6) lgkmcnt(11)
	v_mul_f64 v[76:77], v[30:31], v[2:3]
	v_mul_f64 v[2:3], v[28:29], v[2:3]
	s_waitcnt vmcnt(5) lgkmcnt(10)
	v_mul_f64 v[78:79], v[34:35], v[6:7]
	v_mul_f64 v[6:7], v[32:33], v[6:7]
	;; [unrolled: 3-line block ×7, first 2 shown]
	v_fma_f64 v[28:29], v[28:29], v[0:1], v[76:77]
	v_fma_f64 v[30:31], v[30:31], v[0:1], -v[2:3]
	v_fma_f64 v[32:33], v[32:33], v[4:5], v[78:79]
	v_fma_f64 v[34:35], v[34:35], v[4:5], -v[6:7]
	;; [unrolled: 2-line block ×6, first 2 shown]
	v_fma_f64 v[52:53], v[52:53], v[24:25], v[99:100]
	ds_read_b128 v[0:3], v121 offset:3120
	ds_read_b128 v[4:7], v121 offset:3744
	v_fma_f64 v[54:55], v[54:55], v[24:25], -v[26:27]
	s_waitcnt lgkmcnt(0)
	s_barrier
	buffer_gl0_inv
	v_add_f64 v[8:9], v[60:61], -v[28:29]
	v_add_f64 v[10:11], v[62:63], -v[30:31]
	v_add_f64 v[12:13], v[56:57], -v[32:33]
	v_add_f64 v[14:15], v[58:59], -v[34:35]
	v_add_f64 v[16:17], v[64:65], -v[36:37]
	v_add_f64 v[18:19], v[66:67], -v[38:39]
	v_add_f64 v[20:21], v[68:69], -v[40:41]
	v_add_f64 v[22:23], v[70:71], -v[42:43]
	v_add_f64 v[24:25], v[72:73], -v[44:45]
	v_add_f64 v[26:27], v[74:75], -v[46:47]
	v_add_f64 v[28:29], v[0:1], -v[48:49]
	v_add_f64 v[30:31], v[2:3], -v[50:51]
	v_add_f64 v[32:33], v[4:5], -v[52:53]
	v_add_f64 v[34:35], v[6:7], -v[54:55]
	v_fma_f64 v[36:37], v[60:61], 2.0, -v[8:9]
	v_fma_f64 v[38:39], v[62:63], 2.0, -v[10:11]
	;; [unrolled: 1-line block ×10, first 2 shown]
	v_lshl_add_u32 v56, v120, 4, v122
	v_fma_f64 v[0:1], v[0:1], 2.0, -v[28:29]
	v_fma_f64 v[2:3], v[2:3], 2.0, -v[30:31]
	;; [unrolled: 1-line block ×4, first 2 shown]
	ds_write_b128 v121, v[8:11] offset:4368
	ds_write_b128 v121, v[36:39]
	ds_write_b128 v90, v[40:43]
	ds_write_b128 v90, v[12:15] offset:4368
	ds_write_b128 v121, v[44:47] offset:1248
	;; [unrolled: 1-line block ×11, first 2 shown]
	s_waitcnt lgkmcnt(0)
	s_barrier
	buffer_gl0_inv
	ds_read_b128 v[0:3], v117
	v_sub_nc_u32_e32 v8, v118, v119
                                        ; implicit-def: $vgpr6_vgpr7
                                        ; implicit-def: $vgpr4_vgpr5
	v_cmpx_ne_u32_e32 0, v80
	s_xor_b32 s5, exec_lo, s5
	s_cbranch_execz .LBB0_20
; %bb.19:
	v_add_co_u32 v4, s0, s1, v86
	v_add_co_ci_u32_e64 v5, s0, s4, v87, s0
	global_load_dwordx4 v[9:12], v[4:5], off
	ds_read_b128 v[4:7], v8 offset:8736
	s_waitcnt lgkmcnt(0)
	v_add_f64 v[13:14], v[0:1], -v[4:5]
	v_add_f64 v[15:16], v[2:3], v[6:7]
	v_add_f64 v[2:3], v[2:3], -v[6:7]
	v_add_f64 v[0:1], v[0:1], v[4:5]
	v_mul_f64 v[6:7], v[13:14], 0.5
	v_mul_f64 v[13:14], v[15:16], 0.5
	;; [unrolled: 1-line block ×3, first 2 shown]
	s_waitcnt vmcnt(0)
	v_mul_f64 v[4:5], v[6:7], v[11:12]
	v_fma_f64 v[15:16], v[13:14], v[11:12], v[2:3]
	v_fma_f64 v[2:3], v[13:14], v[11:12], -v[2:3]
	v_fma_f64 v[11:12], v[0:1], 0.5, v[4:5]
	v_fma_f64 v[0:1], v[0:1], 0.5, -v[4:5]
	v_fma_f64 v[15:16], -v[9:10], v[6:7], v[15:16]
	v_fma_f64 v[2:3], -v[9:10], v[6:7], v[2:3]
	ds_write_b64 v117, v[15:16] offset:8
	ds_write_b64 v8, v[2:3] offset:8744
	v_fma_f64 v[4:5], v[13:14], v[9:10], v[11:12]
	v_fma_f64 v[6:7], -v[13:14], v[9:10], v[0:1]
                                        ; implicit-def: $vgpr0_vgpr1
.LBB0_20:
	s_andn2_saveexec_b32 s0, s5
	s_cbranch_execz .LBB0_22
; %bb.21:
	s_mov_b32 s6, 0
	s_waitcnt lgkmcnt(0)
	v_add_f64 v[6:7], v[0:1], -v[2:3]
	s_mov_b32 s7, s6
	v_mov_b32_e32 v4, s6
	v_mov_b32_e32 v5, s7
	ds_write_b64 v117, v[4:5] offset:8
	ds_write_b64 v8, v[4:5] offset:8744
	ds_read_b64 v[9:10], v118 offset:4376
	v_add_f64 v[4:5], v[0:1], v[2:3]
	s_waitcnt lgkmcnt(0)
	v_xor_b32_e32 v10, 0x80000000, v10
	ds_write_b64 v118, v[9:10] offset:4376
.LBB0_22:
	s_or_b32 exec_lo, exec_lo, s0
	s_waitcnt lgkmcnt(0)
	v_add_co_u32 v0, s0, s1, v88
	v_add_co_ci_u32_e64 v1, s0, s4, v89, s0
	v_add_co_u32 v21, s0, s1, v86
	v_add_co_ci_u32_e64 v22, s0, s4, v87, s0
	global_load_dwordx4 v[0:3], v[0:1], off
	v_lshl_add_u32 v27, v84, 4, v118
	global_load_dwordx4 v[9:12], v[21:22], off offset:1248
	ds_write_b64 v117, v[4:5]
	ds_write_b64 v8, v[6:7] offset:8736
	ds_read_b128 v[4:7], v27
	ds_read_b128 v[13:16], v8 offset:8112
	global_load_dwordx4 v[17:20], v[21:22], off offset:1872
	v_add_co_u32 v21, s0, 0x800, v21
	v_add_co_ci_u32_e64 v22, s0, 0, v22, s0
	s_waitcnt lgkmcnt(0)
	v_add_f64 v[23:24], v[4:5], -v[13:14]
	v_add_f64 v[25:26], v[6:7], v[15:16]
	v_add_f64 v[6:7], v[6:7], -v[15:16]
	v_add_f64 v[4:5], v[4:5], v[13:14]
	v_mul_f64 v[15:16], v[23:24], 0.5
	v_mul_f64 v[23:24], v[25:26], 0.5
	;; [unrolled: 1-line block ×3, first 2 shown]
	s_waitcnt vmcnt(2)
	v_mul_f64 v[13:14], v[15:16], v[2:3]
	v_fma_f64 v[25:26], v[23:24], v[2:3], v[6:7]
	v_fma_f64 v[2:3], v[23:24], v[2:3], -v[6:7]
	v_fma_f64 v[6:7], v[4:5], 0.5, v[13:14]
	v_fma_f64 v[4:5], v[4:5], 0.5, -v[13:14]
	v_fma_f64 v[13:14], -v[0:1], v[15:16], v[25:26]
	v_fma_f64 v[2:3], -v[0:1], v[15:16], v[2:3]
	v_fma_f64 v[6:7], v[23:24], v[0:1], v[6:7]
	v_fma_f64 v[0:1], -v[23:24], v[0:1], v[4:5]
	ds_write2_b64 v27, v[6:7], v[13:14] offset1:1
	ds_write_b128 v8, v[0:3] offset:8112
	ds_read_b128 v[0:3], v117 offset:1248
	ds_read_b128 v[4:7], v8 offset:7488
	global_load_dwordx4 v[13:16], v[21:22], off offset:448
	s_waitcnt lgkmcnt(0)
	v_add_f64 v[23:24], v[0:1], -v[4:5]
	v_add_f64 v[25:26], v[2:3], v[6:7]
	v_add_f64 v[2:3], v[2:3], -v[6:7]
	v_add_f64 v[0:1], v[0:1], v[4:5]
	v_mul_f64 v[6:7], v[23:24], 0.5
	v_mul_f64 v[23:24], v[25:26], 0.5
	v_mul_f64 v[2:3], v[2:3], 0.5
	s_waitcnt vmcnt(2)
	v_mul_f64 v[4:5], v[6:7], v[11:12]
	v_fma_f64 v[25:26], v[23:24], v[11:12], v[2:3]
	v_fma_f64 v[2:3], v[23:24], v[11:12], -v[2:3]
	v_fma_f64 v[11:12], v[0:1], 0.5, v[4:5]
	v_fma_f64 v[0:1], v[0:1], 0.5, -v[4:5]
	v_fma_f64 v[4:5], -v[9:10], v[6:7], v[25:26]
	v_fma_f64 v[2:3], -v[9:10], v[6:7], v[2:3]
	v_fma_f64 v[6:7], v[23:24], v[9:10], v[11:12]
	v_fma_f64 v[0:1], -v[23:24], v[9:10], v[0:1]
	ds_write2_b64 v117, v[6:7], v[4:5] offset0:156 offset1:157
	ds_write_b128 v8, v[0:3] offset:7488
	ds_read_b128 v[0:3], v117 offset:1872
	ds_read_b128 v[4:7], v8 offset:6864
	global_load_dwordx4 v[9:12], v[21:22], off offset:1072
	s_waitcnt lgkmcnt(0)
	v_add_f64 v[23:24], v[0:1], -v[4:5]
	v_add_f64 v[25:26], v[2:3], v[6:7]
	v_add_f64 v[2:3], v[2:3], -v[6:7]
	v_add_f64 v[0:1], v[0:1], v[4:5]
	v_mul_f64 v[6:7], v[23:24], 0.5
	v_mul_f64 v[23:24], v[25:26], 0.5
	;; [unrolled: 1-line block ×3, first 2 shown]
	s_waitcnt vmcnt(2)
	v_mul_f64 v[4:5], v[6:7], v[19:20]
	v_fma_f64 v[25:26], v[23:24], v[19:20], v[2:3]
	v_fma_f64 v[2:3], v[23:24], v[19:20], -v[2:3]
	v_fma_f64 v[19:20], v[0:1], 0.5, v[4:5]
	v_fma_f64 v[0:1], v[0:1], 0.5, -v[4:5]
	v_fma_f64 v[4:5], -v[17:18], v[6:7], v[25:26]
	v_fma_f64 v[2:3], -v[17:18], v[6:7], v[2:3]
	v_fma_f64 v[6:7], v[23:24], v[17:18], v[19:20]
	v_fma_f64 v[0:1], -v[23:24], v[17:18], v[0:1]
	ds_write2_b64 v117, v[6:7], v[4:5] offset0:234 offset1:235
	ds_write_b128 v8, v[0:3] offset:6864
	ds_read_b128 v[0:3], v117 offset:2496
	ds_read_b128 v[4:7], v8 offset:6240
	global_load_dwordx4 v[17:20], v[21:22], off offset:1696
	s_waitcnt lgkmcnt(0)
	v_add_f64 v[21:22], v[0:1], -v[4:5]
	v_add_f64 v[23:24], v[2:3], v[6:7]
	v_add_f64 v[2:3], v[2:3], -v[6:7]
	v_add_f64 v[0:1], v[0:1], v[4:5]
	v_mul_f64 v[6:7], v[21:22], 0.5
	v_mul_f64 v[21:22], v[23:24], 0.5
	;; [unrolled: 1-line block ×3, first 2 shown]
	s_waitcnt vmcnt(2)
	v_mul_f64 v[4:5], v[6:7], v[15:16]
	v_fma_f64 v[23:24], v[21:22], v[15:16], v[2:3]
	v_fma_f64 v[2:3], v[21:22], v[15:16], -v[2:3]
	v_fma_f64 v[15:16], v[0:1], 0.5, v[4:5]
	v_fma_f64 v[0:1], v[0:1], 0.5, -v[4:5]
	v_fma_f64 v[4:5], -v[13:14], v[6:7], v[23:24]
	v_fma_f64 v[2:3], -v[13:14], v[6:7], v[2:3]
	v_fma_f64 v[6:7], v[21:22], v[13:14], v[15:16]
	v_fma_f64 v[0:1], -v[21:22], v[13:14], v[0:1]
	v_add_nc_u32_e32 v21, 0x800, v117
	ds_write2_b64 v21, v[6:7], v[4:5] offset0:56 offset1:57
	ds_write_b128 v8, v[0:3] offset:6240
	ds_read_b128 v[0:3], v117 offset:3120
	ds_read_b128 v[4:7], v8 offset:5616
	s_waitcnt lgkmcnt(0)
	v_add_f64 v[13:14], v[0:1], -v[4:5]
	v_add_f64 v[15:16], v[2:3], v[6:7]
	v_add_f64 v[2:3], v[2:3], -v[6:7]
	v_add_f64 v[0:1], v[0:1], v[4:5]
	v_mul_f64 v[6:7], v[13:14], 0.5
	v_mul_f64 v[13:14], v[15:16], 0.5
	;; [unrolled: 1-line block ×3, first 2 shown]
	s_waitcnt vmcnt(1)
	v_mul_f64 v[4:5], v[6:7], v[11:12]
	v_fma_f64 v[15:16], v[13:14], v[11:12], v[2:3]
	v_fma_f64 v[2:3], v[13:14], v[11:12], -v[2:3]
	v_fma_f64 v[11:12], v[0:1], 0.5, v[4:5]
	v_fma_f64 v[0:1], v[0:1], 0.5, -v[4:5]
	v_fma_f64 v[4:5], -v[9:10], v[6:7], v[15:16]
	v_fma_f64 v[2:3], -v[9:10], v[6:7], v[2:3]
	v_fma_f64 v[6:7], v[13:14], v[9:10], v[11:12]
	v_fma_f64 v[0:1], -v[13:14], v[9:10], v[0:1]
	ds_write2_b64 v21, v[6:7], v[4:5] offset0:134 offset1:135
	ds_write_b128 v8, v[0:3] offset:5616
	ds_read_b128 v[0:3], v117 offset:3744
	ds_read_b128 v[4:7], v8 offset:4992
	s_waitcnt lgkmcnt(0)
	v_add_f64 v[9:10], v[0:1], -v[4:5]
	v_add_f64 v[11:12], v[2:3], v[6:7]
	v_add_f64 v[2:3], v[2:3], -v[6:7]
	v_add_f64 v[0:1], v[0:1], v[4:5]
	v_mul_f64 v[6:7], v[9:10], 0.5
	v_mul_f64 v[9:10], v[11:12], 0.5
	;; [unrolled: 1-line block ×3, first 2 shown]
	s_waitcnt vmcnt(0)
	v_mul_f64 v[4:5], v[6:7], v[19:20]
	v_fma_f64 v[11:12], v[9:10], v[19:20], v[2:3]
	v_fma_f64 v[2:3], v[9:10], v[19:20], -v[2:3]
	v_fma_f64 v[13:14], v[0:1], 0.5, v[4:5]
	v_fma_f64 v[0:1], v[0:1], 0.5, -v[4:5]
	v_fma_f64 v[4:5], -v[17:18], v[6:7], v[11:12]
	v_fma_f64 v[2:3], -v[17:18], v[6:7], v[2:3]
	v_fma_f64 v[6:7], v[9:10], v[17:18], v[13:14]
	v_fma_f64 v[0:1], -v[9:10], v[17:18], v[0:1]
	ds_write2_b64 v21, v[6:7], v[4:5] offset0:212 offset1:213
	ds_write_b128 v8, v[0:3] offset:4992
	s_waitcnt lgkmcnt(0)
	s_barrier
	buffer_gl0_inv
	s_and_saveexec_b32 s0, vcc_lo
	s_cbranch_execz .LBB0_25
; %bb.23:
	ds_read_b128 v[2:5], v117
	ds_read_b128 v[6:9], v117 offset:624
	ds_read_b128 v[10:13], v117 offset:1248
	v_add_co_u32 v0, vcc_lo, s2, v82
	v_add_co_ci_u32_e32 v1, vcc_lo, s3, v83, vcc_lo
	ds_read_b128 v[14:17], v117 offset:1872
	ds_read_b128 v[18:21], v117 offset:2496
	;; [unrolled: 1-line block ×4, first 2 shown]
	v_add_co_u32 v46, vcc_lo, v0, v86
	v_add_co_ci_u32_e32 v47, vcc_lo, v1, v87, vcc_lo
	ds_read_b128 v[30:33], v117 offset:4368
	ds_read_b128 v[34:37], v117 offset:4992
	ds_read_b128 v[38:41], v117 offset:5616
	v_add_co_u32 v48, vcc_lo, 0x800, v46
	v_add_co_ci_u32_e32 v49, vcc_lo, 0, v47, vcc_lo
	s_waitcnt lgkmcnt(9)
	global_store_dwordx4 v[46:47], v[2:5], off
	s_waitcnt lgkmcnt(8)
	global_store_dwordx4 v[46:47], v[6:9], off offset:624
	s_waitcnt lgkmcnt(7)
	global_store_dwordx4 v[46:47], v[10:13], off offset:1248
	ds_read_b128 v[2:5], v117 offset:6240
	ds_read_b128 v[6:9], v117 offset:6864
	;; [unrolled: 1-line block ×4, first 2 shown]
	s_waitcnt lgkmcnt(10)
	global_store_dwordx4 v[46:47], v[14:17], off offset:1872
	s_waitcnt lgkmcnt(9)
	global_store_dwordx4 v[48:49], v[18:21], off offset:448
	;; [unrolled: 2-line block ×4, first 2 shown]
	v_add_co_u32 v14, vcc_lo, 0x1000, v46
	v_add_co_ci_u32_e32 v15, vcc_lo, 0, v47, vcc_lo
	v_add_co_u32 v16, vcc_lo, 0x1800, v46
	v_add_co_ci_u32_e32 v17, vcc_lo, 0, v47, vcc_lo
	v_cmp_eq_u32_e32 vcc_lo, 38, v80
	s_waitcnt lgkmcnt(6)
	global_store_dwordx4 v[14:15], v[30:33], off offset:272
	s_waitcnt lgkmcnt(5)
	global_store_dwordx4 v[14:15], v[34:37], off offset:896
	;; [unrolled: 2-line block ×7, first 2 shown]
	s_and_b32 exec_lo, exec_lo, vcc_lo
	s_cbranch_execz .LBB0_25
; %bb.24:
	ds_read_b128 v[2:5], v117 offset:8128
	v_add_co_u32 v0, vcc_lo, 0x2000, v0
	v_add_co_ci_u32_e32 v1, vcc_lo, 0, v1, vcc_lo
	s_waitcnt lgkmcnt(0)
	global_store_dwordx4 v[0:1], v[2:5], off offset:544
.LBB0_25:
	s_endpgm
	.section	.rodata,"a",@progbits
	.p2align	6, 0x0
	.amdhsa_kernel fft_rtc_back_len546_factors_13_3_7_2_wgs_117_tpt_39_halfLds_dp_ip_CI_unitstride_sbrr_R2C_dirReg
		.amdhsa_group_segment_fixed_size 0
		.amdhsa_private_segment_fixed_size 0
		.amdhsa_kernarg_size 88
		.amdhsa_user_sgpr_count 6
		.amdhsa_user_sgpr_private_segment_buffer 1
		.amdhsa_user_sgpr_dispatch_ptr 0
		.amdhsa_user_sgpr_queue_ptr 0
		.amdhsa_user_sgpr_kernarg_segment_ptr 1
		.amdhsa_user_sgpr_dispatch_id 0
		.amdhsa_user_sgpr_flat_scratch_init 0
		.amdhsa_user_sgpr_private_segment_size 0
		.amdhsa_wavefront_size32 1
		.amdhsa_uses_dynamic_stack 0
		.amdhsa_system_sgpr_private_segment_wavefront_offset 0
		.amdhsa_system_sgpr_workgroup_id_x 1
		.amdhsa_system_sgpr_workgroup_id_y 0
		.amdhsa_system_sgpr_workgroup_id_z 0
		.amdhsa_system_sgpr_workgroup_info 0
		.amdhsa_system_vgpr_workitem_id 0
		.amdhsa_next_free_vgpr 230
		.amdhsa_next_free_sgpr 42
		.amdhsa_reserve_vcc 1
		.amdhsa_reserve_flat_scratch 0
		.amdhsa_float_round_mode_32 0
		.amdhsa_float_round_mode_16_64 0
		.amdhsa_float_denorm_mode_32 3
		.amdhsa_float_denorm_mode_16_64 3
		.amdhsa_dx10_clamp 1
		.amdhsa_ieee_mode 1
		.amdhsa_fp16_overflow 0
		.amdhsa_workgroup_processor_mode 1
		.amdhsa_memory_ordered 1
		.amdhsa_forward_progress 0
		.amdhsa_shared_vgpr_count 0
		.amdhsa_exception_fp_ieee_invalid_op 0
		.amdhsa_exception_fp_denorm_src 0
		.amdhsa_exception_fp_ieee_div_zero 0
		.amdhsa_exception_fp_ieee_overflow 0
		.amdhsa_exception_fp_ieee_underflow 0
		.amdhsa_exception_fp_ieee_inexact 0
		.amdhsa_exception_int_div_zero 0
	.end_amdhsa_kernel
	.text
.Lfunc_end0:
	.size	fft_rtc_back_len546_factors_13_3_7_2_wgs_117_tpt_39_halfLds_dp_ip_CI_unitstride_sbrr_R2C_dirReg, .Lfunc_end0-fft_rtc_back_len546_factors_13_3_7_2_wgs_117_tpt_39_halfLds_dp_ip_CI_unitstride_sbrr_R2C_dirReg
                                        ; -- End function
	.section	.AMDGPU.csdata,"",@progbits
; Kernel info:
; codeLenInByte = 15812
; NumSgprs: 44
; NumVgprs: 230
; ScratchSize: 0
; MemoryBound: 0
; FloatMode: 240
; IeeeMode: 1
; LDSByteSize: 0 bytes/workgroup (compile time only)
; SGPRBlocks: 5
; VGPRBlocks: 28
; NumSGPRsForWavesPerEU: 44
; NumVGPRsForWavesPerEU: 230
; Occupancy: 4
; WaveLimiterHint : 1
; COMPUTE_PGM_RSRC2:SCRATCH_EN: 0
; COMPUTE_PGM_RSRC2:USER_SGPR: 6
; COMPUTE_PGM_RSRC2:TRAP_HANDLER: 0
; COMPUTE_PGM_RSRC2:TGID_X_EN: 1
; COMPUTE_PGM_RSRC2:TGID_Y_EN: 0
; COMPUTE_PGM_RSRC2:TGID_Z_EN: 0
; COMPUTE_PGM_RSRC2:TIDIG_COMP_CNT: 0
	.text
	.p2alignl 6, 3214868480
	.fill 48, 4, 3214868480
	.type	__hip_cuid_6f55b624daf19208,@object ; @__hip_cuid_6f55b624daf19208
	.section	.bss,"aw",@nobits
	.globl	__hip_cuid_6f55b624daf19208
__hip_cuid_6f55b624daf19208:
	.byte	0                               ; 0x0
	.size	__hip_cuid_6f55b624daf19208, 1

	.ident	"AMD clang version 19.0.0git (https://github.com/RadeonOpenCompute/llvm-project roc-6.4.0 25133 c7fe45cf4b819c5991fe208aaa96edf142730f1d)"
	.section	".note.GNU-stack","",@progbits
	.addrsig
	.addrsig_sym __hip_cuid_6f55b624daf19208
	.amdgpu_metadata
---
amdhsa.kernels:
  - .args:
      - .actual_access:  read_only
        .address_space:  global
        .offset:         0
        .size:           8
        .value_kind:     global_buffer
      - .offset:         8
        .size:           8
        .value_kind:     by_value
      - .actual_access:  read_only
        .address_space:  global
        .offset:         16
        .size:           8
        .value_kind:     global_buffer
      - .actual_access:  read_only
        .address_space:  global
        .offset:         24
        .size:           8
        .value_kind:     global_buffer
      - .offset:         32
        .size:           8
        .value_kind:     by_value
      - .actual_access:  read_only
        .address_space:  global
        .offset:         40
        .size:           8
        .value_kind:     global_buffer
      - .actual_access:  read_only
        .address_space:  global
        .offset:         48
        .size:           8
        .value_kind:     global_buffer
      - .offset:         56
        .size:           4
        .value_kind:     by_value
      - .actual_access:  read_only
        .address_space:  global
        .offset:         64
        .size:           8
        .value_kind:     global_buffer
      - .actual_access:  read_only
        .address_space:  global
        .offset:         72
        .size:           8
        .value_kind:     global_buffer
      - .address_space:  global
        .offset:         80
        .size:           8
        .value_kind:     global_buffer
    .group_segment_fixed_size: 0
    .kernarg_segment_align: 8
    .kernarg_segment_size: 88
    .language:       OpenCL C
    .language_version:
      - 2
      - 0
    .max_flat_workgroup_size: 117
    .name:           fft_rtc_back_len546_factors_13_3_7_2_wgs_117_tpt_39_halfLds_dp_ip_CI_unitstride_sbrr_R2C_dirReg
    .private_segment_fixed_size: 0
    .sgpr_count:     44
    .sgpr_spill_count: 0
    .symbol:         fft_rtc_back_len546_factors_13_3_7_2_wgs_117_tpt_39_halfLds_dp_ip_CI_unitstride_sbrr_R2C_dirReg.kd
    .uniform_work_group_size: 1
    .uses_dynamic_stack: false
    .vgpr_count:     230
    .vgpr_spill_count: 0
    .wavefront_size: 32
    .workgroup_processor_mode: 1
amdhsa.target:   amdgcn-amd-amdhsa--gfx1030
amdhsa.version:
  - 1
  - 2
...

	.end_amdgpu_metadata
